;; amdgpu-corpus repo=ROCm/rocFFT kind=compiled arch=gfx1100 opt=O3
	.text
	.amdgcn_target "amdgcn-amd-amdhsa--gfx1100"
	.amdhsa_code_object_version 6
	.protected	fft_rtc_back_len1632_factors_17_2_2_3_8_wgs_102_tpt_102_halfLds_dp_op_CI_CI_unitstride_sbrr_C2R_dirReg ; -- Begin function fft_rtc_back_len1632_factors_17_2_2_3_8_wgs_102_tpt_102_halfLds_dp_op_CI_CI_unitstride_sbrr_C2R_dirReg
	.globl	fft_rtc_back_len1632_factors_17_2_2_3_8_wgs_102_tpt_102_halfLds_dp_op_CI_CI_unitstride_sbrr_C2R_dirReg
	.p2align	8
	.type	fft_rtc_back_len1632_factors_17_2_2_3_8_wgs_102_tpt_102_halfLds_dp_op_CI_CI_unitstride_sbrr_C2R_dirReg,@function
fft_rtc_back_len1632_factors_17_2_2_3_8_wgs_102_tpt_102_halfLds_dp_op_CI_CI_unitstride_sbrr_C2R_dirReg: ; @fft_rtc_back_len1632_factors_17_2_2_3_8_wgs_102_tpt_102_halfLds_dp_op_CI_CI_unitstride_sbrr_C2R_dirReg
; %bb.0:
	s_clause 0x2
	s_load_b128 s[8:11], s[0:1], 0x0
	s_load_b128 s[4:7], s[0:1], 0x58
	;; [unrolled: 1-line block ×3, first 2 shown]
	v_mul_u32_u24_e32 v1, 0x283, v0
	v_mov_b32_e32 v3, 0
	s_delay_alu instid0(VALU_DEP_2) | instskip(NEXT) | instid1(VALU_DEP_1)
	v_lshrrev_b32_e32 v1, 16, v1
	v_add_nc_u32_e32 v5, s15, v1
	v_mov_b32_e32 v1, 0
	v_mov_b32_e32 v2, 0
	;; [unrolled: 1-line block ×3, first 2 shown]
	s_waitcnt lgkmcnt(0)
	v_cmp_lt_u64_e64 s2, s[10:11], 2
	s_delay_alu instid0(VALU_DEP_1)
	s_and_b32 vcc_lo, exec_lo, s2
	s_cbranch_vccnz .LBB0_8
; %bb.1:
	s_load_b64 s[2:3], s[0:1], 0x10
	v_mov_b32_e32 v1, 0
	v_mov_b32_e32 v2, 0
	s_add_u32 s12, s18, 8
	s_addc_u32 s13, s19, 0
	s_add_u32 s14, s16, 8
	s_addc_u32 s15, s17, 0
	v_dual_mov_b32 v73, v2 :: v_dual_mov_b32 v72, v1
	s_mov_b64 s[22:23], 1
	s_waitcnt lgkmcnt(0)
	s_add_u32 s20, s2, 8
	s_addc_u32 s21, s3, 0
.LBB0_2:                                ; =>This Inner Loop Header: Depth=1
	s_load_b64 s[24:25], s[20:21], 0x0
                                        ; implicit-def: $vgpr76_vgpr77
	s_mov_b32 s2, exec_lo
	s_waitcnt lgkmcnt(0)
	v_or_b32_e32 v4, s25, v6
	s_delay_alu instid0(VALU_DEP_1)
	v_cmpx_ne_u64_e32 0, v[3:4]
	s_xor_b32 s3, exec_lo, s2
	s_cbranch_execz .LBB0_4
; %bb.3:                                ;   in Loop: Header=BB0_2 Depth=1
	v_cvt_f32_u32_e32 v4, s24
	v_cvt_f32_u32_e32 v7, s25
	s_sub_u32 s2, 0, s24
	s_subb_u32 s26, 0, s25
	s_delay_alu instid0(VALU_DEP_1) | instskip(NEXT) | instid1(VALU_DEP_1)
	v_fmac_f32_e32 v4, 0x4f800000, v7
	v_rcp_f32_e32 v4, v4
	s_waitcnt_depctr 0xfff
	v_mul_f32_e32 v4, 0x5f7ffffc, v4
	s_delay_alu instid0(VALU_DEP_1) | instskip(NEXT) | instid1(VALU_DEP_1)
	v_mul_f32_e32 v7, 0x2f800000, v4
	v_trunc_f32_e32 v7, v7
	s_delay_alu instid0(VALU_DEP_1) | instskip(SKIP_1) | instid1(VALU_DEP_2)
	v_fmac_f32_e32 v4, 0xcf800000, v7
	v_cvt_u32_f32_e32 v7, v7
	v_cvt_u32_f32_e32 v4, v4
	s_delay_alu instid0(VALU_DEP_2) | instskip(NEXT) | instid1(VALU_DEP_2)
	v_mul_lo_u32 v8, s2, v7
	v_mul_hi_u32 v9, s2, v4
	v_mul_lo_u32 v10, s26, v4
	s_delay_alu instid0(VALU_DEP_2) | instskip(SKIP_1) | instid1(VALU_DEP_2)
	v_add_nc_u32_e32 v8, v9, v8
	v_mul_lo_u32 v9, s2, v4
	v_add_nc_u32_e32 v8, v8, v10
	s_delay_alu instid0(VALU_DEP_2) | instskip(NEXT) | instid1(VALU_DEP_2)
	v_mul_hi_u32 v10, v4, v9
	v_mul_lo_u32 v11, v4, v8
	v_mul_hi_u32 v12, v4, v8
	v_mul_hi_u32 v13, v7, v9
	v_mul_lo_u32 v9, v7, v9
	v_mul_hi_u32 v14, v7, v8
	v_mul_lo_u32 v8, v7, v8
	v_add_co_u32 v10, vcc_lo, v10, v11
	v_add_co_ci_u32_e32 v11, vcc_lo, 0, v12, vcc_lo
	s_delay_alu instid0(VALU_DEP_2) | instskip(NEXT) | instid1(VALU_DEP_2)
	v_add_co_u32 v9, vcc_lo, v10, v9
	v_add_co_ci_u32_e32 v9, vcc_lo, v11, v13, vcc_lo
	v_add_co_ci_u32_e32 v10, vcc_lo, 0, v14, vcc_lo
	s_delay_alu instid0(VALU_DEP_2) | instskip(NEXT) | instid1(VALU_DEP_2)
	v_add_co_u32 v8, vcc_lo, v9, v8
	v_add_co_ci_u32_e32 v9, vcc_lo, 0, v10, vcc_lo
	s_delay_alu instid0(VALU_DEP_2) | instskip(NEXT) | instid1(VALU_DEP_2)
	v_add_co_u32 v4, vcc_lo, v4, v8
	v_add_co_ci_u32_e32 v7, vcc_lo, v7, v9, vcc_lo
	s_delay_alu instid0(VALU_DEP_2) | instskip(SKIP_1) | instid1(VALU_DEP_3)
	v_mul_hi_u32 v8, s2, v4
	v_mul_lo_u32 v10, s26, v4
	v_mul_lo_u32 v9, s2, v7
	s_delay_alu instid0(VALU_DEP_1) | instskip(SKIP_1) | instid1(VALU_DEP_2)
	v_add_nc_u32_e32 v8, v8, v9
	v_mul_lo_u32 v9, s2, v4
	v_add_nc_u32_e32 v8, v8, v10
	s_delay_alu instid0(VALU_DEP_2) | instskip(NEXT) | instid1(VALU_DEP_2)
	v_mul_hi_u32 v10, v4, v9
	v_mul_lo_u32 v11, v4, v8
	v_mul_hi_u32 v12, v4, v8
	v_mul_hi_u32 v13, v7, v9
	v_mul_lo_u32 v9, v7, v9
	v_mul_hi_u32 v14, v7, v8
	v_mul_lo_u32 v8, v7, v8
	v_add_co_u32 v10, vcc_lo, v10, v11
	v_add_co_ci_u32_e32 v11, vcc_lo, 0, v12, vcc_lo
	s_delay_alu instid0(VALU_DEP_2) | instskip(NEXT) | instid1(VALU_DEP_2)
	v_add_co_u32 v9, vcc_lo, v10, v9
	v_add_co_ci_u32_e32 v9, vcc_lo, v11, v13, vcc_lo
	v_add_co_ci_u32_e32 v10, vcc_lo, 0, v14, vcc_lo
	s_delay_alu instid0(VALU_DEP_2) | instskip(NEXT) | instid1(VALU_DEP_2)
	v_add_co_u32 v8, vcc_lo, v9, v8
	v_add_co_ci_u32_e32 v9, vcc_lo, 0, v10, vcc_lo
	s_delay_alu instid0(VALU_DEP_2) | instskip(NEXT) | instid1(VALU_DEP_2)
	v_add_co_u32 v4, vcc_lo, v4, v8
	v_add_co_ci_u32_e32 v13, vcc_lo, v7, v9, vcc_lo
	s_delay_alu instid0(VALU_DEP_2) | instskip(SKIP_1) | instid1(VALU_DEP_3)
	v_mul_hi_u32 v14, v5, v4
	v_mad_u64_u32 v[9:10], null, v6, v4, 0
	v_mad_u64_u32 v[7:8], null, v5, v13, 0
	;; [unrolled: 1-line block ×3, first 2 shown]
	s_delay_alu instid0(VALU_DEP_2) | instskip(NEXT) | instid1(VALU_DEP_3)
	v_add_co_u32 v4, vcc_lo, v14, v7
	v_add_co_ci_u32_e32 v7, vcc_lo, 0, v8, vcc_lo
	s_delay_alu instid0(VALU_DEP_2) | instskip(NEXT) | instid1(VALU_DEP_2)
	v_add_co_u32 v4, vcc_lo, v4, v9
	v_add_co_ci_u32_e32 v4, vcc_lo, v7, v10, vcc_lo
	v_add_co_ci_u32_e32 v7, vcc_lo, 0, v12, vcc_lo
	s_delay_alu instid0(VALU_DEP_2) | instskip(NEXT) | instid1(VALU_DEP_2)
	v_add_co_u32 v4, vcc_lo, v4, v11
	v_add_co_ci_u32_e32 v9, vcc_lo, 0, v7, vcc_lo
	s_delay_alu instid0(VALU_DEP_2) | instskip(SKIP_1) | instid1(VALU_DEP_3)
	v_mul_lo_u32 v10, s25, v4
	v_mad_u64_u32 v[7:8], null, s24, v4, 0
	v_mul_lo_u32 v11, s24, v9
	s_delay_alu instid0(VALU_DEP_2) | instskip(NEXT) | instid1(VALU_DEP_2)
	v_sub_co_u32 v7, vcc_lo, v5, v7
	v_add3_u32 v8, v8, v11, v10
	s_delay_alu instid0(VALU_DEP_1) | instskip(NEXT) | instid1(VALU_DEP_1)
	v_sub_nc_u32_e32 v10, v6, v8
	v_subrev_co_ci_u32_e64 v10, s2, s25, v10, vcc_lo
	v_add_co_u32 v11, s2, v4, 2
	s_delay_alu instid0(VALU_DEP_1) | instskip(SKIP_3) | instid1(VALU_DEP_3)
	v_add_co_ci_u32_e64 v12, s2, 0, v9, s2
	v_sub_co_u32 v13, s2, v7, s24
	v_sub_co_ci_u32_e32 v8, vcc_lo, v6, v8, vcc_lo
	v_subrev_co_ci_u32_e64 v10, s2, 0, v10, s2
	v_cmp_le_u32_e32 vcc_lo, s24, v13
	s_delay_alu instid0(VALU_DEP_3) | instskip(SKIP_1) | instid1(VALU_DEP_4)
	v_cmp_eq_u32_e64 s2, s25, v8
	v_cndmask_b32_e64 v13, 0, -1, vcc_lo
	v_cmp_le_u32_e32 vcc_lo, s25, v10
	v_cndmask_b32_e64 v14, 0, -1, vcc_lo
	v_cmp_le_u32_e32 vcc_lo, s24, v7
	;; [unrolled: 2-line block ×3, first 2 shown]
	v_cndmask_b32_e64 v15, 0, -1, vcc_lo
	v_cmp_eq_u32_e32 vcc_lo, s25, v10
	s_delay_alu instid0(VALU_DEP_2) | instskip(SKIP_3) | instid1(VALU_DEP_3)
	v_cndmask_b32_e64 v7, v15, v7, s2
	v_cndmask_b32_e32 v10, v14, v13, vcc_lo
	v_add_co_u32 v13, vcc_lo, v4, 1
	v_add_co_ci_u32_e32 v14, vcc_lo, 0, v9, vcc_lo
	v_cmp_ne_u32_e32 vcc_lo, 0, v10
	s_delay_alu instid0(VALU_DEP_2) | instskip(NEXT) | instid1(VALU_DEP_4)
	v_cndmask_b32_e32 v8, v14, v12, vcc_lo
	v_cndmask_b32_e32 v10, v13, v11, vcc_lo
	v_cmp_ne_u32_e32 vcc_lo, 0, v7
	s_delay_alu instid0(VALU_DEP_2)
	v_dual_cndmask_b32 v77, v9, v8 :: v_dual_cndmask_b32 v76, v4, v10
.LBB0_4:                                ;   in Loop: Header=BB0_2 Depth=1
	s_and_not1_saveexec_b32 s2, s3
	s_cbranch_execz .LBB0_6
; %bb.5:                                ;   in Loop: Header=BB0_2 Depth=1
	v_cvt_f32_u32_e32 v4, s24
	s_sub_i32 s3, 0, s24
	v_mov_b32_e32 v77, v3
	s_delay_alu instid0(VALU_DEP_2) | instskip(SKIP_2) | instid1(VALU_DEP_1)
	v_rcp_iflag_f32_e32 v4, v4
	s_waitcnt_depctr 0xfff
	v_mul_f32_e32 v4, 0x4f7ffffe, v4
	v_cvt_u32_f32_e32 v4, v4
	s_delay_alu instid0(VALU_DEP_1) | instskip(NEXT) | instid1(VALU_DEP_1)
	v_mul_lo_u32 v7, s3, v4
	v_mul_hi_u32 v7, v4, v7
	s_delay_alu instid0(VALU_DEP_1) | instskip(NEXT) | instid1(VALU_DEP_1)
	v_add_nc_u32_e32 v4, v4, v7
	v_mul_hi_u32 v4, v5, v4
	s_delay_alu instid0(VALU_DEP_1) | instskip(SKIP_1) | instid1(VALU_DEP_2)
	v_mul_lo_u32 v7, v4, s24
	v_add_nc_u32_e32 v8, 1, v4
	v_sub_nc_u32_e32 v7, v5, v7
	s_delay_alu instid0(VALU_DEP_1) | instskip(SKIP_1) | instid1(VALU_DEP_2)
	v_subrev_nc_u32_e32 v9, s24, v7
	v_cmp_le_u32_e32 vcc_lo, s24, v7
	v_dual_cndmask_b32 v7, v7, v9 :: v_dual_cndmask_b32 v4, v4, v8
	s_delay_alu instid0(VALU_DEP_1) | instskip(NEXT) | instid1(VALU_DEP_2)
	v_cmp_le_u32_e32 vcc_lo, s24, v7
	v_add_nc_u32_e32 v8, 1, v4
	s_delay_alu instid0(VALU_DEP_1)
	v_cndmask_b32_e32 v76, v4, v8, vcc_lo
.LBB0_6:                                ;   in Loop: Header=BB0_2 Depth=1
	s_or_b32 exec_lo, exec_lo, s2
	s_delay_alu instid0(VALU_DEP_1) | instskip(NEXT) | instid1(VALU_DEP_2)
	v_mul_lo_u32 v4, v77, s24
	v_mul_lo_u32 v9, v76, s25
	s_load_b64 s[2:3], s[14:15], 0x0
	v_mad_u64_u32 v[7:8], null, v76, s24, 0
	s_load_b64 s[24:25], s[12:13], 0x0
	s_add_u32 s22, s22, 1
	s_addc_u32 s23, s23, 0
	s_add_u32 s12, s12, 8
	s_addc_u32 s13, s13, 0
	s_add_u32 s14, s14, 8
	s_delay_alu instid0(VALU_DEP_1) | instskip(SKIP_3) | instid1(VALU_DEP_2)
	v_add3_u32 v4, v8, v9, v4
	v_sub_co_u32 v8, vcc_lo, v5, v7
	s_addc_u32 s15, s15, 0
	s_add_u32 s20, s20, 8
	v_sub_co_ci_u32_e32 v6, vcc_lo, v6, v4, vcc_lo
	s_addc_u32 s21, s21, 0
	s_waitcnt lgkmcnt(0)
	s_delay_alu instid0(VALU_DEP_1)
	v_mul_lo_u32 v9, s2, v6
	v_mul_lo_u32 v10, s3, v8
	v_mad_u64_u32 v[4:5], null, s2, v8, v[1:2]
	v_mul_lo_u32 v11, s24, v6
	v_mul_lo_u32 v12, s25, v8
	v_mad_u64_u32 v[6:7], null, s24, v8, v[72:73]
	v_cmp_ge_u64_e64 s2, s[22:23], s[10:11]
	v_add3_u32 v2, v10, v5, v9
	s_delay_alu instid0(VALU_DEP_3) | instskip(NEXT) | instid1(VALU_DEP_4)
	v_dual_mov_b32 v1, v4 :: v_dual_mov_b32 v72, v6
	v_add3_u32 v73, v12, v7, v11
	s_delay_alu instid0(VALU_DEP_4)
	s_and_b32 vcc_lo, exec_lo, s2
	s_cbranch_vccnz .LBB0_9
; %bb.7:                                ;   in Loop: Header=BB0_2 Depth=1
	v_dual_mov_b32 v5, v76 :: v_dual_mov_b32 v6, v77
	s_branch .LBB0_2
.LBB0_8:
	v_dual_mov_b32 v73, v2 :: v_dual_mov_b32 v72, v1
	v_dual_mov_b32 v77, v6 :: v_dual_mov_b32 v76, v5
.LBB0_9:
	s_load_b64 s[0:1], s[0:1], 0x28
	v_mul_hi_u32 v3, 0x2828283, v0
	s_lshl_b64 s[10:11], s[10:11], 3
                                        ; implicit-def: $vgpr74
	s_delay_alu instid0(SALU_CYCLE_1) | instskip(SKIP_4) | instid1(VALU_DEP_1)
	s_add_u32 s2, s18, s10
	s_addc_u32 s3, s19, s11
	s_waitcnt lgkmcnt(0)
	v_cmp_gt_u64_e32 vcc_lo, s[0:1], v[76:77]
	v_cmp_le_u64_e64 s0, s[0:1], v[76:77]
	s_and_saveexec_b32 s1, s0
	s_delay_alu instid0(SALU_CYCLE_1)
	s_xor_b32 s0, exec_lo, s1
; %bb.10:
	v_mul_u32_u24_e32 v1, 0x66, v3
                                        ; implicit-def: $vgpr3
	s_delay_alu instid0(VALU_DEP_1)
	v_sub_nc_u32_e32 v74, v0, v1
                                        ; implicit-def: $vgpr0
                                        ; implicit-def: $vgpr1_vgpr2
; %bb.11:
	s_or_saveexec_b32 s1, s0
	s_load_b64 s[2:3], s[2:3], 0x0
	s_xor_b32 exec_lo, exec_lo, s1
	s_cbranch_execz .LBB0_15
; %bb.12:
	s_add_u32 s10, s16, s10
	s_addc_u32 s11, s17, s11
	v_lshlrev_b64 v[1:2], 4, v[1:2]
	s_load_b64 s[10:11], s[10:11], 0x0
	s_waitcnt lgkmcnt(0)
	v_mul_lo_u32 v6, s11, v76
	v_mul_lo_u32 v7, s10, v77
	v_mad_u64_u32 v[4:5], null, s10, v76, 0
	s_delay_alu instid0(VALU_DEP_1) | instskip(SKIP_1) | instid1(VALU_DEP_2)
	v_add3_u32 v5, v5, v7, v6
	v_mul_u32_u24_e32 v6, 0x66, v3
	v_lshlrev_b64 v[3:4], 4, v[4:5]
	s_delay_alu instid0(VALU_DEP_2) | instskip(NEXT) | instid1(VALU_DEP_1)
	v_sub_nc_u32_e32 v74, v0, v6
	v_lshlrev_b32_e32 v66, 4, v74
	s_delay_alu instid0(VALU_DEP_3) | instskip(NEXT) | instid1(VALU_DEP_1)
	v_add_co_u32 v0, s0, s4, v3
	v_add_co_ci_u32_e64 v3, s0, s5, v4, s0
	s_mov_b32 s4, exec_lo
	s_delay_alu instid0(VALU_DEP_2) | instskip(NEXT) | instid1(VALU_DEP_1)
	v_add_co_u32 v0, s0, v0, v1
	v_add_co_ci_u32_e64 v1, s0, v3, v2, s0
	s_delay_alu instid0(VALU_DEP_2) | instskip(NEXT) | instid1(VALU_DEP_1)
	v_add_co_u32 v10, s0, v0, v66
	v_add_co_ci_u32_e64 v11, s0, 0, v1, s0
	s_clause 0x1
	global_load_b128 v[2:5], v[10:11], off
	global_load_b128 v[6:9], v[10:11], off offset:1632
	v_add_co_u32 v22, s0, 0x1000, v10
	s_delay_alu instid0(VALU_DEP_1) | instskip(SKIP_1) | instid1(VALU_DEP_1)
	v_add_co_ci_u32_e64 v23, s0, 0, v11, s0
	v_add_co_u32 v30, s0, 0x2000, v10
	v_add_co_ci_u32_e64 v31, s0, 0, v11, s0
	v_add_co_u32 v42, s0, 0x3000, v10
	s_delay_alu instid0(VALU_DEP_1) | instskip(SKIP_1) | instid1(VALU_DEP_1)
	v_add_co_ci_u32_e64 v43, s0, 0, v11, s0
	v_add_co_u32 v50, s0, 0x4000, v10
	v_add_co_ci_u32_e64 v51, s0, 0, v11, s0
	v_add_co_u32 v62, s0, 0x5000, v10
	s_delay_alu instid0(VALU_DEP_1)
	v_add_co_ci_u32_e64 v63, s0, 0, v11, s0
	s_clause 0xd
	global_load_b128 v[10:13], v[10:11], off offset:3264
	global_load_b128 v[14:17], v[22:23], off offset:800
	global_load_b128 v[18:21], v[22:23], off offset:2432
	global_load_b128 v[22:25], v[22:23], off offset:4064
	global_load_b128 v[26:29], v[30:31], off offset:1600
	global_load_b128 v[30:33], v[30:31], off offset:3232
	global_load_b128 v[34:37], v[42:43], off offset:768
	global_load_b128 v[38:41], v[42:43], off offset:2400
	global_load_b128 v[42:45], v[42:43], off offset:4032
	global_load_b128 v[46:49], v[50:51], off offset:1568
	global_load_b128 v[50:53], v[50:51], off offset:3200
	global_load_b128 v[54:57], v[62:63], off offset:736
	global_load_b128 v[58:61], v[62:63], off offset:2368
	global_load_b128 v[62:65], v[62:63], off offset:4000
	v_add_nc_u32_e32 v66, 0, v66
	s_waitcnt vmcnt(15)
	ds_store_b128 v66, v[2:5]
	s_waitcnt vmcnt(14)
	ds_store_b128 v66, v[6:9] offset:1632
	s_waitcnt vmcnt(13)
	ds_store_b128 v66, v[10:13] offset:3264
	;; [unrolled: 2-line block ×15, first 2 shown]
	v_cmpx_eq_u32_e32 0x65, v74
	s_cbranch_execz .LBB0_14
; %bb.13:
	v_add_co_u32 v0, s0, 0x6000, v0
	s_delay_alu instid0(VALU_DEP_1)
	v_add_co_ci_u32_e64 v1, s0, 0, v1, s0
	v_mov_b32_e32 v4, 0
	v_mov_b32_e32 v74, 0x65
	global_load_b128 v[0:3], v[0:1], off offset:1536
	s_waitcnt vmcnt(0)
	ds_store_b128 v4, v[0:3] offset:26112
.LBB0_14:
	s_or_b32 exec_lo, exec_lo, s4
.LBB0_15:
	s_delay_alu instid0(SALU_CYCLE_1)
	s_or_b32 exec_lo, exec_lo, s1
	v_lshlrev_b32_e32 v0, 4, v74
	s_waitcnt lgkmcnt(0)
	s_barrier
	buffer_gl0_inv
	s_add_u32 s1, s8, 0x64f0
	v_add_nc_u32_e32 v174, 0, v0
	v_sub_nc_u32_e32 v10, 0, v0
	s_addc_u32 s4, s9, 0
	s_mov_b32 s5, exec_lo
                                        ; implicit-def: $vgpr4_vgpr5
	ds_load_b64 v[6:7], v174
	ds_load_b64 v[8:9], v10 offset:26112
	s_waitcnt lgkmcnt(0)
	v_add_f64 v[0:1], v[6:7], v[8:9]
	v_add_f64 v[2:3], v[6:7], -v[8:9]
	v_cmpx_ne_u32_e32 0, v74
	s_xor_b32 s5, exec_lo, s5
	s_cbranch_execz .LBB0_17
; %bb.16:
	v_mov_b32_e32 v75, 0
	v_add_f64 v[13:14], v[6:7], v[8:9]
	v_add_f64 v[15:16], v[6:7], -v[8:9]
	s_delay_alu instid0(VALU_DEP_3) | instskip(NEXT) | instid1(VALU_DEP_1)
	v_lshlrev_b64 v[0:1], 4, v[74:75]
	v_add_co_u32 v0, s0, s1, v0
	s_delay_alu instid0(VALU_DEP_1)
	v_add_co_ci_u32_e64 v1, s0, s4, v1, s0
	global_load_b128 v[2:5], v[0:1], off
	ds_load_b64 v[0:1], v10 offset:26120
	ds_load_b64 v[11:12], v174 offset:8
	s_waitcnt lgkmcnt(0)
	v_add_f64 v[6:7], v[0:1], v[11:12]
	v_add_f64 v[0:1], v[11:12], -v[0:1]
	s_waitcnt vmcnt(0)
	v_fma_f64 v[8:9], v[15:16], v[4:5], v[13:14]
	v_fma_f64 v[11:12], -v[15:16], v[4:5], v[13:14]
	s_delay_alu instid0(VALU_DEP_3) | instskip(SKIP_1) | instid1(VALU_DEP_4)
	v_fma_f64 v[13:14], v[6:7], v[4:5], -v[0:1]
	v_fma_f64 v[4:5], v[6:7], v[4:5], v[0:1]
	v_fma_f64 v[0:1], -v[6:7], v[2:3], v[8:9]
	s_delay_alu instid0(VALU_DEP_4) | instskip(NEXT) | instid1(VALU_DEP_4)
	v_fma_f64 v[6:7], v[6:7], v[2:3], v[11:12]
	v_fma_f64 v[8:9], v[15:16], v[2:3], v[13:14]
	s_delay_alu instid0(VALU_DEP_4)
	v_fma_f64 v[2:3], v[15:16], v[2:3], v[4:5]
	v_dual_mov_b32 v4, v74 :: v_dual_mov_b32 v5, v75
	ds_store_b128 v10, v[6:9] offset:26112
.LBB0_17:
	s_and_not1_saveexec_b32 s0, s5
	s_cbranch_execz .LBB0_19
; %bb.18:
	v_mov_b32_e32 v8, 0
	ds_load_b128 v[4:7], v8 offset:13056
	s_waitcnt lgkmcnt(0)
	v_add_f64 v[11:12], v[4:5], v[4:5]
	v_mul_f64 v[13:14], v[6:7], -2.0
	v_mov_b32_e32 v4, 0
	v_mov_b32_e32 v5, 0
	ds_store_b128 v8, v[11:14] offset:13056
.LBB0_19:
	s_or_b32 exec_lo, exec_lo, s0
	v_lshlrev_b64 v[4:5], 4, v[4:5]
	s_mov_b32 s20, 0x5d8e7cdc
	s_mov_b32 s21, 0xbfd71e95
	;; [unrolled: 1-line block ×5, first 2 shown]
	v_add_co_u32 v23, s0, s1, v4
	s_delay_alu instid0(VALU_DEP_1) | instskip(SKIP_1) | instid1(VALU_DEP_2)
	v_add_co_ci_u32_e64 v24, s0, s4, v5, s0
	s_mov_b32 s4, 0x370991
	v_add_co_u32 v25, s0, 0x1000, v23
	s_clause 0x1
	global_load_b128 v[4:7], v[23:24], off offset:1632
	global_load_b128 v[11:14], v[23:24], off offset:3264
	ds_store_b128 v174, v[0:3]
	ds_load_b128 v[0:3], v174 offset:1632
	ds_load_b128 v[15:18], v10 offset:24480
	v_add_co_ci_u32_e64 v26, s0, 0, v24, s0
	s_mov_b32 s5, 0x3fedd6d0
	s_mov_b32 s13, 0x3fe7a5f6
	;; [unrolled: 1-line block ×3, first 2 shown]
	global_load_b128 v[19:22], v[25:26], off offset:800
	s_mov_b32 s10, 0x2b2883cd
	s_mov_b32 s27, 0xbfeca52d
	;; [unrolled: 1-line block ×13, first 2 shown]
	s_waitcnt lgkmcnt(0)
	v_add_f64 v[8:9], v[0:1], v[15:16]
	v_add_f64 v[27:28], v[17:18], v[2:3]
	v_add_f64 v[15:16], v[0:1], -v[15:16]
	v_add_f64 v[0:1], v[2:3], -v[17:18]
	s_mov_b32 s23, 0xbfe348c8
	s_mov_b32 s31, 0xbfe9895b
	;; [unrolled: 1-line block ×10, first 2 shown]
	s_mov_b32 s33, exec_lo
	s_waitcnt vmcnt(2)
	s_delay_alu instid0(VALU_DEP_2) | instskip(NEXT) | instid1(VALU_DEP_2)
	v_fma_f64 v[2:3], v[15:16], v[6:7], v[8:9]
	v_fma_f64 v[17:18], v[27:28], v[6:7], v[0:1]
	v_fma_f64 v[8:9], -v[15:16], v[6:7], v[8:9]
	v_fma_f64 v[29:30], v[27:28], v[6:7], -v[0:1]
	s_delay_alu instid0(VALU_DEP_4) | instskip(NEXT) | instid1(VALU_DEP_4)
	v_fma_f64 v[0:1], -v[27:28], v[4:5], v[2:3]
	v_fma_f64 v[2:3], v[15:16], v[4:5], v[17:18]
	s_delay_alu instid0(VALU_DEP_4) | instskip(NEXT) | instid1(VALU_DEP_4)
	v_fma_f64 v[6:7], v[27:28], v[4:5], v[8:9]
	v_fma_f64 v[8:9], v[15:16], v[4:5], v[29:30]
	ds_store_b128 v174, v[0:3] offset:1632
	ds_store_b128 v10, v[6:9] offset:24480
	ds_load_b128 v[0:3], v174 offset:3264
	ds_load_b128 v[4:7], v10 offset:22848
	global_load_b128 v[15:18], v[25:26], off offset:2432
	s_waitcnt lgkmcnt(0)
	v_add_f64 v[8:9], v[0:1], v[4:5]
	v_add_f64 v[27:28], v[6:7], v[2:3]
	v_add_f64 v[29:30], v[0:1], -v[4:5]
	v_add_f64 v[0:1], v[2:3], -v[6:7]
	s_waitcnt vmcnt(2)
	s_delay_alu instid0(VALU_DEP_2) | instskip(NEXT) | instid1(VALU_DEP_2)
	v_fma_f64 v[2:3], v[29:30], v[13:14], v[8:9]
	v_fma_f64 v[4:5], v[27:28], v[13:14], v[0:1]
	v_fma_f64 v[6:7], -v[29:30], v[13:14], v[8:9]
	v_fma_f64 v[8:9], v[27:28], v[13:14], -v[0:1]
	s_delay_alu instid0(VALU_DEP_4) | instskip(NEXT) | instid1(VALU_DEP_4)
	v_fma_f64 v[0:1], -v[27:28], v[11:12], v[2:3]
	v_fma_f64 v[2:3], v[29:30], v[11:12], v[4:5]
	s_delay_alu instid0(VALU_DEP_4) | instskip(NEXT) | instid1(VALU_DEP_4)
	v_fma_f64 v[4:5], v[27:28], v[11:12], v[6:7]
	v_fma_f64 v[6:7], v[29:30], v[11:12], v[8:9]
	ds_store_b128 v174, v[0:3] offset:3264
	ds_store_b128 v10, v[4:7] offset:22848
	ds_load_b128 v[0:3], v174 offset:4896
	ds_load_b128 v[4:7], v10 offset:21216
	global_load_b128 v[11:14], v[25:26], off offset:4064
	s_waitcnt lgkmcnt(0)
	v_add_f64 v[8:9], v[0:1], v[4:5]
	v_add_f64 v[25:26], v[6:7], v[2:3]
	v_add_f64 v[27:28], v[0:1], -v[4:5]
	v_add_f64 v[0:1], v[2:3], -v[6:7]
	s_waitcnt vmcnt(2)
	s_delay_alu instid0(VALU_DEP_2) | instskip(NEXT) | instid1(VALU_DEP_2)
	v_fma_f64 v[2:3], v[27:28], v[21:22], v[8:9]
	v_fma_f64 v[4:5], v[25:26], v[21:22], v[0:1]
	v_fma_f64 v[6:7], -v[27:28], v[21:22], v[8:9]
	v_fma_f64 v[8:9], v[25:26], v[21:22], -v[0:1]
	s_delay_alu instid0(VALU_DEP_4) | instskip(NEXT) | instid1(VALU_DEP_4)
	v_fma_f64 v[0:1], -v[25:26], v[19:20], v[2:3]
	v_fma_f64 v[2:3], v[27:28], v[19:20], v[4:5]
	s_delay_alu instid0(VALU_DEP_4) | instskip(NEXT) | instid1(VALU_DEP_4)
	v_fma_f64 v[4:5], v[25:26], v[19:20], v[6:7]
	v_fma_f64 v[6:7], v[27:28], v[19:20], v[8:9]
	v_add_co_u32 v8, s0, 0x2000, v23
	s_delay_alu instid0(VALU_DEP_1)
	v_add_co_ci_u32_e64 v9, s0, 0, v24, s0
	ds_store_b128 v174, v[0:3] offset:4896
	ds_store_b128 v10, v[4:7] offset:21216
	ds_load_b128 v[0:3], v174 offset:6528
	ds_load_b128 v[4:7], v10 offset:19584
	global_load_b128 v[19:22], v[8:9], off offset:1600
	s_waitcnt lgkmcnt(0)
	v_add_f64 v[23:24], v[0:1], v[4:5]
	v_add_f64 v[25:26], v[6:7], v[2:3]
	v_add_f64 v[27:28], v[0:1], -v[4:5]
	v_add_f64 v[0:1], v[2:3], -v[6:7]
	s_waitcnt vmcnt(2)
	s_delay_alu instid0(VALU_DEP_2) | instskip(NEXT) | instid1(VALU_DEP_2)
	v_fma_f64 v[2:3], v[27:28], v[17:18], v[23:24]
	v_fma_f64 v[4:5], v[25:26], v[17:18], v[0:1]
	v_fma_f64 v[6:7], -v[27:28], v[17:18], v[23:24]
	v_fma_f64 v[17:18], v[25:26], v[17:18], -v[0:1]
	s_delay_alu instid0(VALU_DEP_4) | instskip(NEXT) | instid1(VALU_DEP_4)
	v_fma_f64 v[0:1], -v[25:26], v[15:16], v[2:3]
	v_fma_f64 v[2:3], v[27:28], v[15:16], v[4:5]
	s_delay_alu instid0(VALU_DEP_4) | instskip(NEXT) | instid1(VALU_DEP_4)
	v_fma_f64 v[4:5], v[25:26], v[15:16], v[6:7]
	v_fma_f64 v[6:7], v[27:28], v[15:16], v[17:18]
	ds_store_b128 v174, v[0:3] offset:6528
	ds_store_b128 v10, v[4:7] offset:19584
	ds_load_b128 v[0:3], v174 offset:8160
	ds_load_b128 v[4:7], v10 offset:17952
	global_load_b128 v[15:18], v[8:9], off offset:3232
	s_waitcnt lgkmcnt(0)
	v_add_f64 v[8:9], v[0:1], v[4:5]
	v_add_f64 v[23:24], v[6:7], v[2:3]
	v_add_f64 v[25:26], v[0:1], -v[4:5]
	v_add_f64 v[0:1], v[2:3], -v[6:7]
	s_waitcnt vmcnt(2)
	s_delay_alu instid0(VALU_DEP_2) | instskip(NEXT) | instid1(VALU_DEP_2)
	v_fma_f64 v[2:3], v[25:26], v[13:14], v[8:9]
	v_fma_f64 v[4:5], v[23:24], v[13:14], v[0:1]
	v_fma_f64 v[6:7], -v[25:26], v[13:14], v[8:9]
	v_fma_f64 v[8:9], v[23:24], v[13:14], -v[0:1]
	s_delay_alu instid0(VALU_DEP_4) | instskip(NEXT) | instid1(VALU_DEP_4)
	v_fma_f64 v[0:1], -v[23:24], v[11:12], v[2:3]
	v_fma_f64 v[2:3], v[25:26], v[11:12], v[4:5]
	s_delay_alu instid0(VALU_DEP_4) | instskip(NEXT) | instid1(VALU_DEP_4)
	v_fma_f64 v[4:5], v[23:24], v[11:12], v[6:7]
	v_fma_f64 v[6:7], v[25:26], v[11:12], v[8:9]
	ds_store_b128 v174, v[0:3] offset:8160
	ds_store_b128 v10, v[4:7] offset:17952
	ds_load_b128 v[0:3], v174 offset:9792
	ds_load_b128 v[4:7], v10 offset:16320
	s_waitcnt lgkmcnt(0)
	v_add_f64 v[8:9], v[0:1], v[4:5]
	v_add_f64 v[11:12], v[6:7], v[2:3]
	v_add_f64 v[13:14], v[0:1], -v[4:5]
	v_add_f64 v[0:1], v[2:3], -v[6:7]
	s_waitcnt vmcnt(1)
	s_delay_alu instid0(VALU_DEP_2) | instskip(NEXT) | instid1(VALU_DEP_2)
	v_fma_f64 v[2:3], v[13:14], v[21:22], v[8:9]
	v_fma_f64 v[4:5], v[11:12], v[21:22], v[0:1]
	v_fma_f64 v[6:7], -v[13:14], v[21:22], v[8:9]
	v_fma_f64 v[8:9], v[11:12], v[21:22], -v[0:1]
	s_delay_alu instid0(VALU_DEP_4) | instskip(NEXT) | instid1(VALU_DEP_4)
	v_fma_f64 v[0:1], -v[11:12], v[19:20], v[2:3]
	v_fma_f64 v[2:3], v[13:14], v[19:20], v[4:5]
	s_delay_alu instid0(VALU_DEP_4) | instskip(NEXT) | instid1(VALU_DEP_4)
	v_fma_f64 v[4:5], v[11:12], v[19:20], v[6:7]
	v_fma_f64 v[6:7], v[13:14], v[19:20], v[8:9]
	ds_store_b128 v174, v[0:3] offset:9792
	ds_store_b128 v10, v[4:7] offset:16320
	ds_load_b128 v[0:3], v174 offset:11424
	ds_load_b128 v[4:7], v10 offset:14688
	s_waitcnt lgkmcnt(0)
	v_add_f64 v[8:9], v[0:1], v[4:5]
	v_add_f64 v[11:12], v[6:7], v[2:3]
	v_add_f64 v[13:14], v[0:1], -v[4:5]
	v_add_f64 v[0:1], v[2:3], -v[6:7]
	s_waitcnt vmcnt(0)
	s_delay_alu instid0(VALU_DEP_2) | instskip(NEXT) | instid1(VALU_DEP_2)
	v_fma_f64 v[2:3], v[13:14], v[17:18], v[8:9]
	v_fma_f64 v[4:5], v[11:12], v[17:18], v[0:1]
	v_fma_f64 v[6:7], -v[13:14], v[17:18], v[8:9]
	v_fma_f64 v[8:9], v[11:12], v[17:18], -v[0:1]
	s_delay_alu instid0(VALU_DEP_4) | instskip(NEXT) | instid1(VALU_DEP_4)
	v_fma_f64 v[0:1], -v[11:12], v[15:16], v[2:3]
	v_fma_f64 v[2:3], v[13:14], v[15:16], v[4:5]
	s_delay_alu instid0(VALU_DEP_4) | instskip(NEXT) | instid1(VALU_DEP_4)
	v_fma_f64 v[4:5], v[11:12], v[15:16], v[6:7]
	v_fma_f64 v[6:7], v[13:14], v[15:16], v[8:9]
	ds_store_b128 v174, v[0:3] offset:11424
	ds_store_b128 v10, v[4:7] offset:14688
	s_waitcnt lgkmcnt(0)
	s_barrier
	buffer_gl0_inv
	s_barrier
	buffer_gl0_inv
	ds_load_b128 v[8:11], v174 offset:24576
	ds_load_b128 v[32:35], v174 offset:1536
	ds_load_b128 v[4:7], v174
	ds_load_b128 v[12:15], v174 offset:23040
	ds_load_b128 v[40:43], v174 offset:3072
	;; [unrolled: 1-line block ×8, first 2 shown]
	s_waitcnt lgkmcnt(9)
	v_add_f64 v[158:159], v[34:35], -v[10:11]
	v_add_f64 v[166:167], v[34:35], v[10:11]
	v_add_f64 v[154:155], v[32:33], v[8:9]
	s_waitcnt lgkmcnt(6)
	v_add_f64 v[96:97], v[42:43], -v[14:15]
	v_add_f64 v[170:171], v[32:33], -v[8:9]
	v_add_f64 v[78:79], v[42:43], v[14:15]
	v_add_f64 v[80:81], v[40:41], v[12:13]
	s_waitcnt lgkmcnt(4)
	v_add_f64 v[100:101], v[46:47], -v[18:19]
	v_add_f64 v[102:103], v[40:41], -v[12:13]
	v_add_f64 v[82:83], v[46:47], v[18:19]
	v_add_f64 v[84:85], v[44:45], v[16:17]
	v_add_f64 v[116:117], v[44:45], -v[16:17]
	s_waitcnt lgkmcnt(2)
	v_add_f64 v[112:113], v[50:51], -v[22:23]
	v_add_f64 v[86:87], v[50:51], v[22:23]
	v_add_f64 v[88:89], v[48:49], v[20:21]
	v_add_f64 v[118:119], v[48:49], -v[20:21]
	s_waitcnt lgkmcnt(0)
	v_add_f64 v[114:115], v[54:55], -v[26:27]
	v_add_f64 v[90:91], v[54:55], v[26:27]
	v_add_f64 v[92:93], v[52:53], v[24:25]
	v_add_f64 v[124:125], v[52:53], -v[24:25]
	v_mul_f64 v[156:157], v[158:159], s[20:21]
	v_mul_f64 v[172:173], v[166:167], s[4:5]
	;; [unrolled: 1-line block ×10, first 2 shown]
	v_fma_f64 v[0:1], v[154:155], s[4:5], -v[156:157]
	v_fma_f64 v[2:3], v[170:171], s[20:21], v[172:173]
	v_fma_f64 v[28:29], v[80:81], s[12:13], -v[134:135]
	v_fma_f64 v[30:31], v[102:103], s[18:19], v[136:137]
	;; [unrolled: 2-line block ×5, first 2 shown]
	v_add_f64 v[0:1], v[4:5], v[0:1]
	v_add_f64 v[2:3], v[6:7], v[2:3]
	s_delay_alu instid0(VALU_DEP_2) | instskip(NEXT) | instid1(VALU_DEP_2)
	v_add_f64 v[0:1], v[28:29], v[0:1]
	v_add_f64 v[2:3], v[30:31], v[2:3]
	ds_load_b128 v[28:31], v174 offset:16896
	ds_load_b128 v[60:63], v174 offset:9216
	;; [unrolled: 1-line block ×4, first 2 shown]
	s_waitcnt lgkmcnt(2)
	v_add_f64 v[120:121], v[62:63], -v[30:31]
	v_add_f64 v[94:95], v[62:63], v[30:31]
	v_add_f64 v[98:99], v[60:61], v[28:29]
	v_add_f64 v[126:127], v[60:61], -v[28:29]
	s_waitcnt lgkmcnt(0)
	v_add_f64 v[122:123], v[66:67], -v[38:39]
	v_add_f64 v[104:105], v[66:67], v[38:39]
	v_add_f64 v[106:107], v[64:65], v[36:37]
	v_add_f64 v[130:131], v[64:65], -v[36:37]
	v_add_f64 v[0:1], v[56:57], v[0:1]
	v_add_f64 v[2:3], v[58:59], v[2:3]
	v_mul_f64 v[150:151], v[120:121], s[30:31]
	v_mul_f64 v[152:153], v[94:95], s[22:23]
	;; [unrolled: 1-line block ×4, first 2 shown]
	v_add_f64 v[0:1], v[68:69], v[0:1]
	v_add_f64 v[2:3], v[70:71], v[2:3]
	ds_load_b128 v[68:71], v174 offset:12288
	ds_load_b128 v[56:59], v174 offset:13824
	s_waitcnt lgkmcnt(0)
	s_barrier
	buffer_gl0_inv
	v_add_f64 v[128:129], v[70:71], -v[58:59]
	v_add_f64 v[108:109], v[70:71], v[58:59]
	v_fma_f64 v[175:176], v[98:99], s[22:23], -v[150:151]
	v_fma_f64 v[177:178], v[126:127], s[30:31], v[152:153]
	v_fma_f64 v[179:180], v[106:107], s[24:25], -v[160:161]
	v_fma_f64 v[181:182], v[130:131], s[36:37], v[164:165]
	v_add_f64 v[0:1], v[110:111], v[0:1]
	v_add_f64 v[2:3], v[132:133], v[2:3]
	;; [unrolled: 1-line block ×3, first 2 shown]
	v_add_f64 v[132:133], v[68:69], -v[56:57]
	v_mul_f64 v[162:163], v[128:129], s[38:39]
	v_mul_f64 v[168:169], v[108:109], s[28:29]
	v_add_f64 v[0:1], v[175:176], v[0:1]
	v_add_f64 v[2:3], v[177:178], v[2:3]
	s_delay_alu instid0(VALU_DEP_4) | instskip(NEXT) | instid1(VALU_DEP_4)
	v_fma_f64 v[175:176], v[110:111], s[28:29], -v[162:163]
	v_fma_f64 v[177:178], v[132:133], s[38:39], v[168:169]
	s_delay_alu instid0(VALU_DEP_4) | instskip(NEXT) | instid1(VALU_DEP_4)
	v_add_f64 v[0:1], v[179:180], v[0:1]
	v_add_f64 v[2:3], v[181:182], v[2:3]
	s_delay_alu instid0(VALU_DEP_2) | instskip(NEXT) | instid1(VALU_DEP_2)
	v_add_f64 v[0:1], v[175:176], v[0:1]
	v_add_f64 v[2:3], v[177:178], v[2:3]
	v_cmpx_gt_u32_e32 0x60, v74
	s_cbranch_execz .LBB0_21
; %bb.20:
	v_add_f64 v[32:33], v[4:5], v[32:33]
	v_add_f64 v[34:35], v[6:7], v[34:35]
	s_mov_b32 s47, 0x3fd71e95
	s_mov_b32 s46, s20
	;; [unrolled: 1-line block ×9, first 2 shown]
	v_mul_f64 v[185:186], v[132:133], s[42:43]
	v_mul_f64 v[187:188], v[128:129], s[42:43]
	s_mov_b32 s48, s30
	s_mov_b32 s51, 0x3fe0d888
	;; [unrolled: 1-line block ×5, first 2 shown]
	v_mul_f64 v[189:190], v[126:127], s[20:21]
	v_mul_f64 v[191:192], v[120:121], s[20:21]
	;; [unrolled: 1-line block ×20, first 2 shown]
	v_add_f64 v[32:33], v[32:33], v[40:41]
	v_add_f64 v[34:35], v[34:35], v[42:43]
	v_mul_f64 v[42:43], v[158:159], s[38:39]
	v_mul_f64 v[40:41], v[170:171], s[20:21]
	;; [unrolled: 1-line block ×11, first 2 shown]
	v_add_f64 v[32:33], v[32:33], v[44:45]
	v_add_f64 v[34:35], v[34:35], v[46:47]
	v_mul_f64 v[44:45], v[158:159], s[36:37]
	v_mul_f64 v[46:47], v[158:159], s[30:31]
	v_add_f64 v[40:41], v[172:173], -v[40:41]
	v_add_f64 v[32:33], v[32:33], v[48:49]
	v_add_f64 v[34:35], v[34:35], v[50:51]
	v_mul_f64 v[48:49], v[158:159], s[40:41]
	v_mul_f64 v[50:51], v[158:159], s[34:35]
	s_delay_alu instid0(VALU_DEP_4) | instskip(NEXT) | instid1(VALU_DEP_4)
	v_add_f64 v[32:33], v[32:33], v[52:53]
	v_add_f64 v[34:35], v[34:35], v[54:55]
	v_mul_f64 v[52:53], v[158:159], s[26:27]
	v_mul_f64 v[54:55], v[158:159], s[18:19]
	s_delay_alu instid0(VALU_DEP_4) | instskip(NEXT) | instid1(VALU_DEP_4)
	v_add_f64 v[32:33], v[32:33], v[60:61]
	v_add_f64 v[34:35], v[34:35], v[62:63]
	v_fma_f64 v[60:61], v[154:155], s[22:23], -v[46:47]
	v_fma_f64 v[46:47], v[154:155], s[22:23], v[46:47]
	v_fma_f64 v[62:63], v[154:155], s[16:17], -v[48:49]
	v_fma_f64 v[48:49], v[154:155], s[16:17], v[48:49]
	v_add_f64 v[32:33], v[32:33], v[64:65]
	v_add_f64 v[34:35], v[34:35], v[66:67]
	v_fma_f64 v[64:65], v[154:155], s[14:15], -v[50:51]
	v_fma_f64 v[50:51], v[154:155], s[14:15], v[50:51]
	v_fma_f64 v[66:67], v[154:155], s[10:11], -v[52:53]
	v_fma_f64 v[52:53], v[154:155], s[10:11], v[52:53]
	v_add_f64 v[60:61], v[4:5], v[60:61]
	v_add_f64 v[62:63], v[4:5], v[62:63]
	;; [unrolled: 1-line block ×5, first 2 shown]
	v_mul_f64 v[70:71], v[154:155], s[4:5]
	v_fma_f64 v[68:69], v[154:155], s[12:13], -v[54:55]
	v_fma_f64 v[54:55], v[154:155], s[12:13], v[54:55]
	v_add_f64 v[64:65], v[4:5], v[64:65]
	v_add_f64 v[50:51], v[4:5], v[50:51]
	;; [unrolled: 1-line block ×6, first 2 shown]
	v_fma_f64 v[56:57], v[154:155], s[28:29], -v[42:43]
	v_fma_f64 v[42:43], v[154:155], s[28:29], v[42:43]
	v_fma_f64 v[58:59], v[154:155], s[24:25], -v[44:45]
	v_fma_f64 v[44:45], v[154:155], s[24:25], v[44:45]
	v_add_f64 v[70:71], v[70:71], v[156:157]
	v_add_f64 v[32:33], v[32:33], v[36:37]
	;; [unrolled: 1-line block ×3, first 2 shown]
	v_mul_f64 v[36:37], v[170:171], s[18:19]
	v_add_f64 v[56:57], v[4:5], v[56:57]
	v_add_f64 v[42:43], v[4:5], v[42:43]
	;; [unrolled: 1-line block ×6, first 2 shown]
	v_mul_f64 v[32:33], v[170:171], s[26:27]
	v_fma_f64 v[38:39], v[166:167], s[12:13], v[36:37]
	v_fma_f64 v[36:37], v[166:167], s[12:13], -v[36:37]
	v_add_f64 v[24:25], v[28:29], v[24:25]
	v_add_f64 v[26:27], v[30:31], v[26:27]
	v_mul_f64 v[28:29], v[170:171], s[34:35]
	v_fma_f64 v[34:35], v[166:167], s[10:11], v[32:33]
	v_fma_f64 v[32:33], v[166:167], s[10:11], -v[32:33]
	v_add_f64 v[20:21], v[24:25], v[20:21]
	v_add_f64 v[22:23], v[26:27], v[22:23]
	;; [unrolled: 5-line block ×3, first 2 shown]
	v_add_f64 v[181:182], v[6:7], v[32:33]
	v_add_f64 v[32:33], v[6:7], v[36:37]
	;; [unrolled: 1-line block ×4, first 2 shown]
	v_mul_f64 v[20:21], v[170:171], s[30:31]
	v_fma_f64 v[26:27], v[166:167], s[16:17], v[24:25]
	v_fma_f64 v[24:25], v[166:167], s[16:17], -v[24:25]
	v_add_f64 v[175:176], v[6:7], v[30:31]
	v_add_f64 v[30:31], v[4:5], v[70:71]
	;; [unrolled: 1-line block ×6, first 2 shown]
	v_mul_f64 v[16:17], v[170:171], s[36:37]
	v_fma_f64 v[22:23], v[166:167], s[22:23], v[20:21]
	v_fma_f64 v[20:21], v[166:167], s[22:23], -v[20:21]
	v_add_f64 v[172:173], v[6:7], v[26:27]
	v_add_f64 v[8:9], v[12:13], v[8:9]
	v_mul_f64 v[12:13], v[170:171], s[38:39]
	v_add_f64 v[10:11], v[14:15], v[10:11]
	v_fma_f64 v[18:19], v[166:167], s[24:25], v[16:17]
	v_fma_f64 v[16:17], v[166:167], s[24:25], -v[16:17]
	v_add_f64 v[158:159], v[6:7], v[22:23]
	v_add_f64 v[170:171], v[4:5], v[46:47]
	v_mul_f64 v[22:23], v[116:117], s[36:37]
	v_add_f64 v[46:47], v[6:7], v[24:25]
	v_fma_f64 v[14:15], v[166:167], s[28:29], v[12:13]
	v_fma_f64 v[12:13], v[166:167], s[28:29], -v[12:13]
	v_add_f64 v[166:167], v[6:7], v[20:21]
	v_mul_f64 v[20:21], v[102:103], s[46:47]
	v_add_f64 v[156:157], v[6:7], v[16:17]
	v_add_f64 v[16:17], v[4:5], v[68:69]
	v_fma_f64 v[24:25], v[82:83], s[24:25], v[22:23]
	v_add_f64 v[154:155], v[6:7], v[18:19]
	v_add_f64 v[18:19], v[6:7], v[38:39]
	v_add_f64 v[14:15], v[6:7], v[14:15]
	v_add_f64 v[12:13], v[6:7], v[12:13]
	v_fma_f64 v[4:5], v[78:79], s[4:5], v[20:21]
	v_fma_f64 v[20:21], v[78:79], s[4:5], -v[20:21]
	s_delay_alu instid0(VALU_DEP_2) | instskip(SKIP_1) | instid1(VALU_DEP_3)
	v_add_f64 v[4:5], v[4:5], v[14:15]
	v_mul_f64 v[14:15], v[96:97], s[46:47]
	v_add_f64 v[12:13], v[20:21], v[12:13]
	v_fma_f64 v[20:21], v[82:83], s[24:25], -v[22:23]
	v_fma_f64 v[22:23], v[110:111], s[14:15], v[187:188]
	v_add_f64 v[4:5], v[24:25], v[4:5]
	v_fma_f64 v[6:7], v[80:81], s[4:5], -v[14:15]
	v_mul_f64 v[24:25], v[100:101], s[36:37]
	v_fma_f64 v[14:15], v[80:81], s[4:5], v[14:15]
	v_add_f64 v[12:13], v[20:21], v[12:13]
	s_delay_alu instid0(VALU_DEP_4) | instskip(NEXT) | instid1(VALU_DEP_4)
	v_add_f64 v[6:7], v[6:7], v[56:57]
	v_fma_f64 v[26:27], v[84:85], s[24:25], -v[24:25]
	s_delay_alu instid0(VALU_DEP_4) | instskip(SKIP_2) | instid1(VALU_DEP_4)
	v_add_f64 v[14:15], v[14:15], v[42:43]
	v_fma_f64 v[20:21], v[84:85], s[24:25], v[24:25]
	v_mul_f64 v[24:25], v[102:103], s[0:1]
	v_add_f64 v[6:7], v[26:27], v[6:7]
	v_mul_f64 v[26:27], v[118:119], s[44:45]
	s_delay_alu instid0(VALU_DEP_4) | instskip(NEXT) | instid1(VALU_DEP_2)
	v_add_f64 v[14:15], v[20:21], v[14:15]
	v_fma_f64 v[36:37], v[86:87], s[12:13], v[26:27]
	v_fma_f64 v[20:21], v[86:87], s[12:13], -v[26:27]
	v_mul_f64 v[26:27], v[96:97], s[0:1]
	s_delay_alu instid0(VALU_DEP_3) | instskip(SKIP_1) | instid1(VALU_DEP_4)
	v_add_f64 v[4:5], v[36:37], v[4:5]
	v_mul_f64 v[36:37], v[112:113], s[44:45]
	v_add_f64 v[12:13], v[20:21], v[12:13]
	s_delay_alu instid0(VALU_DEP_2) | instskip(SKIP_2) | instid1(VALU_DEP_3)
	v_fma_f64 v[38:39], v[88:89], s[12:13], -v[36:37]
	v_fma_f64 v[20:21], v[88:89], s[12:13], v[36:37]
	v_mul_f64 v[36:37], v[116:117], s[34:35]
	v_add_f64 v[6:7], v[38:39], v[6:7]
	v_mul_f64 v[38:39], v[124:125], s[30:31]
	s_delay_alu instid0(VALU_DEP_4) | instskip(NEXT) | instid1(VALU_DEP_2)
	v_add_f64 v[14:15], v[20:21], v[14:15]
	v_fma_f64 v[40:41], v[90:91], s[22:23], v[38:39]
	v_fma_f64 v[20:21], v[90:91], s[22:23], -v[38:39]
	v_fma_f64 v[38:39], v[82:83], s[14:15], v[36:37]
	v_fma_f64 v[36:37], v[82:83], s[14:15], -v[36:37]
	s_delay_alu instid0(VALU_DEP_4) | instskip(SKIP_2) | instid1(VALU_DEP_2)
	v_add_f64 v[4:5], v[40:41], v[4:5]
	v_mul_f64 v[40:41], v[114:115], s[30:31]
	v_add_f64 v[12:13], v[20:21], v[12:13]
	v_fma_f64 v[54:55], v[92:93], s[22:23], -v[40:41]
	v_fma_f64 v[20:21], v[92:93], s[22:23], v[40:41]
	s_delay_alu instid0(VALU_DEP_2) | instskip(SKIP_1) | instid1(VALU_DEP_3)
	v_add_f64 v[6:7], v[54:55], v[6:7]
	v_mul_f64 v[54:55], v[126:127], s[0:1]
	v_add_f64 v[14:15], v[20:21], v[14:15]
	s_delay_alu instid0(VALU_DEP_2) | instskip(SKIP_1) | instid1(VALU_DEP_2)
	v_fma_f64 v[56:57], v[94:95], s[10:11], v[54:55]
	v_fma_f64 v[20:21], v[94:95], s[10:11], -v[54:55]
	v_add_f64 v[4:5], v[56:57], v[4:5]
	v_mul_f64 v[56:57], v[120:121], s[0:1]
	s_delay_alu instid0(VALU_DEP_3) | instskip(NEXT) | instid1(VALU_DEP_2)
	v_add_f64 v[12:13], v[20:21], v[12:13]
	v_fma_f64 v[68:69], v[98:99], s[10:11], -v[56:57]
	v_fma_f64 v[20:21], v[98:99], s[10:11], v[56:57]
	s_delay_alu instid0(VALU_DEP_2) | instskip(SKIP_1) | instid1(VALU_DEP_3)
	v_add_f64 v[6:7], v[68:69], v[6:7]
	v_mul_f64 v[68:69], v[130:131], s[40:41]
	v_add_f64 v[14:15], v[20:21], v[14:15]
	s_delay_alu instid0(VALU_DEP_2) | instskip(SKIP_1) | instid1(VALU_DEP_2)
	v_fma_f64 v[70:71], v[104:105], s[16:17], v[68:69]
	v_fma_f64 v[20:21], v[104:105], s[16:17], -v[68:69]
	v_add_f64 v[4:5], v[70:71], v[4:5]
	v_mul_f64 v[70:71], v[122:123], s[40:41]
	s_delay_alu instid0(VALU_DEP_3) | instskip(NEXT) | instid1(VALU_DEP_2)
	v_add_f64 v[12:13], v[20:21], v[12:13]
	v_fma_f64 v[20:21], v[106:107], s[16:17], v[70:71]
	v_fma_f64 v[183:184], v[106:107], s[16:17], -v[70:71]
	s_delay_alu instid0(VALU_DEP_2) | instskip(SKIP_1) | instid1(VALU_DEP_3)
	v_add_f64 v[20:21], v[20:21], v[14:15]
	v_fma_f64 v[14:15], v[108:109], s[14:15], -v[185:186]
	v_add_f64 v[183:184], v[183:184], v[6:7]
	v_fma_f64 v[6:7], v[108:109], s[14:15], v[185:186]
	v_mul_f64 v[185:186], v[132:133], s[40:41]
	s_delay_alu instid0(VALU_DEP_4)
	v_add_f64 v[14:15], v[14:15], v[12:13]
	v_add_f64 v[12:13], v[22:23], v[20:21]
	v_fma_f64 v[20:21], v[78:79], s[10:11], v[24:25]
	v_fma_f64 v[22:23], v[80:81], s[10:11], -v[26:27]
	v_fma_f64 v[24:25], v[78:79], s[10:11], -v[24:25]
	v_fma_f64 v[26:27], v[80:81], s[10:11], v[26:27]
	v_add_f64 v[6:7], v[6:7], v[4:5]
	v_fma_f64 v[4:5], v[110:111], s[14:15], -v[187:188]
	v_mul_f64 v[187:188], v[128:129], s[40:41]
	v_add_f64 v[20:21], v[20:21], v[154:155]
	v_add_f64 v[22:23], v[22:23], v[58:59]
	;; [unrolled: 1-line block ×4, first 2 shown]
	v_mul_f64 v[44:45], v[84:85], s[10:11]
	v_add_f64 v[4:5], v[4:5], v[183:184]
	v_mul_f64 v[156:157], v[128:129], s[46:47]
	v_mul_f64 v[128:129], v[128:129], s[0:1]
	v_add_f64 v[20:21], v[38:39], v[20:21]
	v_mul_f64 v[38:39], v[100:101], s[34:35]
	v_add_f64 v[24:25], v[36:37], v[24:25]
	v_add_f64 v[44:45], v[44:45], v[138:139]
	v_mul_f64 v[138:139], v[118:119], s[38:39]
	s_delay_alu instid0(VALU_DEP_4) | instskip(SKIP_2) | instid1(VALU_DEP_3)
	v_fma_f64 v[40:41], v[84:85], s[14:15], -v[38:39]
	v_fma_f64 v[36:37], v[84:85], s[14:15], v[38:39]
	v_fma_f64 v[38:39], v[110:111], s[16:17], v[187:188]
	v_add_f64 v[22:23], v[40:41], v[22:23]
	v_mul_f64 v[40:41], v[118:119], s[48:49]
	s_delay_alu instid0(VALU_DEP_4) | instskip(NEXT) | instid1(VALU_DEP_2)
	v_add_f64 v[26:27], v[36:37], v[26:27]
	v_fma_f64 v[42:43], v[86:87], s[22:23], v[40:41]
	v_fma_f64 v[36:37], v[86:87], s[22:23], -v[40:41]
	v_mul_f64 v[40:41], v[102:103], s[18:19]
	s_delay_alu instid0(VALU_DEP_3) | instskip(SKIP_1) | instid1(VALU_DEP_4)
	v_add_f64 v[20:21], v[42:43], v[20:21]
	v_mul_f64 v[42:43], v[112:113], s[48:49]
	v_add_f64 v[24:25], v[36:37], v[24:25]
	s_delay_alu instid0(VALU_DEP_4) | instskip(SKIP_1) | instid1(VALU_DEP_4)
	v_add_f64 v[40:41], v[136:137], -v[40:41]
	v_mul_f64 v[136:137], v[100:101], s[30:31]
	v_fma_f64 v[54:55], v[88:89], s[22:23], -v[42:43]
	v_fma_f64 v[36:37], v[88:89], s[22:23], v[42:43]
	v_mul_f64 v[42:43], v[88:89], s[14:15]
	v_add_f64 v[28:29], v[40:41], v[28:29]
	v_mul_f64 v[40:41], v[98:99], s[22:23]
	v_add_f64 v[22:23], v[54:55], v[22:23]
	v_mul_f64 v[54:55], v[124:125], s[20:21]
	v_add_f64 v[26:27], v[36:37], v[26:27]
	v_add_f64 v[42:43], v[42:43], v[142:143]
	v_add_f64 v[40:41], v[40:41], v[150:151]
	v_mul_f64 v[142:143], v[124:125], s[50:51]
	v_mul_f64 v[150:151], v[130:131], s[0:1]
	v_fma_f64 v[56:57], v[90:91], s[4:5], v[54:55]
	v_fma_f64 v[36:37], v[90:91], s[4:5], -v[54:55]
	v_mul_f64 v[54:55], v[80:81], s[12:13]
	s_delay_alu instid0(VALU_DEP_3) | instskip(SKIP_1) | instid1(VALU_DEP_4)
	v_add_f64 v[20:21], v[56:57], v[20:21]
	v_mul_f64 v[56:57], v[114:115], s[20:21]
	v_add_f64 v[24:25], v[36:37], v[24:25]
	s_delay_alu instid0(VALU_DEP_4) | instskip(SKIP_1) | instid1(VALU_DEP_4)
	v_add_f64 v[54:55], v[54:55], v[134:135]
	v_mul_f64 v[134:135], v[116:117], s[30:31]
	v_fma_f64 v[58:59], v[92:93], s[4:5], -v[56:57]
	v_fma_f64 v[36:37], v[92:93], s[4:5], v[56:57]
	s_delay_alu instid0(VALU_DEP_4) | instskip(SKIP_2) | instid1(SALU_CYCLE_1)
	v_add_f64 v[30:31], v[54:55], v[30:31]
	v_mul_f64 v[56:57], v[124:125], s[40:41]
	s_mov_b32 s41, 0x3feec746
	v_mul_f64 v[203:204], v[116:117], s[40:41]
	v_mul_f64 v[205:206], v[100:101], s[40:41]
	;; [unrolled: 1-line block ×3, first 2 shown]
	v_add_f64 v[22:23], v[58:59], v[22:23]
	v_mul_f64 v[58:59], v[126:127], s[38:39]
	v_add_f64 v[26:27], v[36:37], v[26:27]
	v_add_f64 v[30:31], v[44:45], v[30:31]
	v_add_f64 v[56:57], v[148:149], -v[56:57]
	v_mul_f64 v[148:149], v[120:121], s[40:41]
	v_fma_f64 v[44:45], v[82:83], s[16:17], -v[203:204]
	v_fma_f64 v[68:69], v[94:95], s[28:29], v[58:59]
	v_fma_f64 v[36:37], v[94:95], s[28:29], -v[58:59]
	v_mul_f64 v[58:59], v[92:93], s[16:17]
	v_add_f64 v[30:31], v[42:43], v[30:31]
	v_mul_f64 v[42:43], v[132:133], s[38:39]
	v_add_f64 v[20:21], v[68:69], v[20:21]
	;; [unrolled: 2-line block ×3, first 2 shown]
	v_add_f64 v[58:59], v[58:59], v[146:147]
	v_add_f64 v[42:43], v[168:169], -v[42:43]
	v_mul_f64 v[146:147], v[126:127], s[40:41]
	v_mul_f64 v[168:169], v[100:101], s[52:53]
	;; [unrolled: 1-line block ×4, first 2 shown]
	v_fma_f64 v[70:71], v[98:99], s[28:29], -v[68:69]
	v_fma_f64 v[36:37], v[98:99], s[28:29], v[68:69]
	v_mul_f64 v[68:69], v[126:127], s[30:31]
	v_add_f64 v[30:31], v[58:59], v[30:31]
	v_mul_f64 v[58:59], v[96:97], s[50:51]
	v_add_f64 v[22:23], v[70:71], v[22:23]
	;; [unrolled: 2-line block ×3, first 2 shown]
	v_add_f64 v[68:69], v[152:153], -v[68:69]
	v_add_f64 v[30:31], v[40:41], v[30:31]
	v_mul_f64 v[40:41], v[110:111], s[28:29]
	v_mul_f64 v[152:153], v[122:123], s[0:1]
	v_fma_f64 v[154:155], v[104:105], s[12:13], v[70:71]
	v_fma_f64 v[36:37], v[104:105], s[12:13], -v[70:71]
	v_mul_f64 v[70:71], v[96:97], s[34:35]
	v_add_f64 v[40:41], v[40:41], v[162:163]
	v_mul_f64 v[162:163], v[96:97], s[30:31]
	v_add_f64 v[20:21], v[154:155], v[20:21]
	;; [unrolled: 2-line block ×3, first 2 shown]
	v_mul_f64 v[122:123], v[122:123], s[38:39]
	s_delay_alu instid0(VALU_DEP_3) | instskip(SKIP_2) | instid1(VALU_DEP_3)
	v_fma_f64 v[36:37], v[106:107], s[12:13], v[154:155]
	v_fma_f64 v[183:184], v[106:107], s[12:13], -v[154:155]
	v_mul_f64 v[154:155], v[132:133], s[46:47]
	v_add_f64 v[36:37], v[36:37], v[26:27]
	v_fma_f64 v[26:27], v[108:109], s[16:17], -v[185:186]
	s_delay_alu instid0(VALU_DEP_4) | instskip(SKIP_2) | instid1(VALU_DEP_4)
	v_add_f64 v[183:184], v[183:184], v[22:23]
	v_fma_f64 v[22:23], v[108:109], s[16:17], v[185:186]
	v_mul_f64 v[185:186], v[124:125], s[44:45]
	v_add_f64 v[26:27], v[26:27], v[24:25]
	v_add_f64 v[24:25], v[38:39], v[36:37]
	v_mul_f64 v[38:39], v[116:117], s[26:27]
	v_mul_f64 v[36:37], v[118:119], s[34:35]
	v_add_f64 v[22:23], v[22:23], v[20:21]
	v_fma_f64 v[20:21], v[110:111], s[16:17], -v[187:188]
	v_mul_f64 v[187:188], v[114:115], s[44:45]
	v_add_f64 v[38:39], v[140:141], -v[38:39]
	v_add_f64 v[36:37], v[144:145], -v[36:37]
	v_mul_f64 v[140:141], v[112:113], s[38:39]
	v_mul_f64 v[144:145], v[114:115], s[50:51]
	v_add_f64 v[20:21], v[20:21], v[183:184]
	v_mul_f64 v[183:184], v[112:113], s[40:41]
	v_mul_f64 v[112:113], v[112:113], s[36:37]
	;; [unrolled: 1-line block ×3, first 2 shown]
	v_add_f64 v[28:29], v[38:39], v[28:29]
	v_mul_f64 v[38:39], v[130:131], s[36:37]
	s_delay_alu instid0(VALU_DEP_2) | instskip(SKIP_1) | instid1(VALU_DEP_3)
	v_add_f64 v[28:29], v[36:37], v[28:29]
	v_mul_f64 v[36:37], v[106:107], s[24:25]
	v_add_f64 v[38:39], v[164:165], -v[38:39]
	v_mul_f64 v[164:165], v[116:117], s[52:53]
	s_delay_alu instid0(VALU_DEP_4) | instskip(NEXT) | instid1(VALU_DEP_4)
	v_add_f64 v[28:29], v[56:57], v[28:29]
	v_add_f64 v[36:37], v[36:37], v[160:161]
	v_mul_f64 v[160:161], v[102:103], s[30:31]
	v_mul_f64 v[56:57], v[102:103], s[50:51]
	s_delay_alu instid0(VALU_DEP_4) | instskip(NEXT) | instid1(VALU_DEP_4)
	v_add_f64 v[28:29], v[68:69], v[28:29]
	v_add_f64 v[36:37], v[36:37], v[30:31]
	v_mul_f64 v[68:69], v[102:103], s[34:35]
	s_delay_alu instid0(VALU_DEP_3) | instskip(SKIP_1) | instid1(VALU_DEP_2)
	v_add_f64 v[28:29], v[38:39], v[28:29]
	v_fma_f64 v[38:39], v[80:81], s[22:23], v[162:163]
	v_add_f64 v[30:31], v[42:43], v[28:29]
	v_add_f64 v[28:29], v[40:41], v[36:37]
	v_fma_f64 v[36:37], v[78:79], s[14:15], -v[68:69]
	v_fma_f64 v[40:41], v[82:83], s[28:29], -v[164:165]
	v_add_f64 v[38:39], v[38:39], v[52:53]
	v_mul_f64 v[52:53], v[102:103], s[40:41]
	v_fma_f64 v[68:69], v[78:79], s[14:15], v[68:69]
	v_add_f64 v[32:33], v[36:37], v[32:33]
	v_fma_f64 v[36:37], v[80:81], s[14:15], v[70:71]
	v_fma_f64 v[70:71], v[80:81], s[14:15], -v[70:71]
	s_delay_alu instid0(VALU_DEP_4) | instskip(SKIP_1) | instid1(VALU_DEP_4)
	v_add_f64 v[18:19], v[68:69], v[18:19]
	v_fma_f64 v[68:69], v[84:85], s[22:23], -v[136:137]
	v_add_f64 v[34:35], v[36:37], v[34:35]
	v_fma_f64 v[36:37], v[82:83], s[22:23], -v[134:135]
	v_add_f64 v[16:17], v[70:71], v[16:17]
	v_fma_f64 v[70:71], v[86:87], s[28:29], v[138:139]
	s_delay_alu instid0(VALU_DEP_3) | instskip(SKIP_1) | instid1(VALU_DEP_4)
	v_add_f64 v[32:33], v[36:37], v[32:33]
	v_fma_f64 v[36:37], v[84:85], s[22:23], v[136:137]
	v_add_f64 v[16:17], v[68:69], v[16:17]
	v_fma_f64 v[68:69], v[90:91], s[24:25], v[142:143]
	s_delay_alu instid0(VALU_DEP_3) | instskip(SKIP_1) | instid1(VALU_DEP_1)
	v_add_f64 v[34:35], v[36:37], v[34:35]
	v_fma_f64 v[36:37], v[86:87], s[28:29], -v[138:139]
	v_add_f64 v[32:33], v[36:37], v[32:33]
	v_fma_f64 v[36:37], v[88:89], s[28:29], v[140:141]
	s_delay_alu instid0(VALU_DEP_1) | instskip(SKIP_1) | instid1(VALU_DEP_1)
	v_add_f64 v[34:35], v[36:37], v[34:35]
	v_fma_f64 v[36:37], v[90:91], s[24:25], -v[142:143]
	v_add_f64 v[32:33], v[36:37], v[32:33]
	v_fma_f64 v[36:37], v[92:93], s[24:25], v[144:145]
	s_delay_alu instid0(VALU_DEP_1) | instskip(SKIP_1) | instid1(VALU_DEP_1)
	;; [unrolled: 5-line block ×5, first 2 shown]
	v_add_f64 v[32:33], v[32:33], v[36:37]
	v_fma_f64 v[36:37], v[78:79], s[22:23], -v[160:161]
	v_add_f64 v[36:37], v[36:37], v[181:182]
	v_mul_f64 v[181:182], v[118:119], s[40:41]
	s_delay_alu instid0(VALU_DEP_2) | instskip(SKIP_1) | instid1(VALU_DEP_1)
	v_add_f64 v[36:37], v[40:41], v[36:37]
	v_fma_f64 v[40:41], v[84:85], s[28:29], v[168:169]
	v_add_f64 v[38:39], v[40:41], v[38:39]
	s_delay_alu instid0(VALU_DEP_4) | instskip(NEXT) | instid1(VALU_DEP_1)
	v_fma_f64 v[40:41], v[86:87], s[16:17], -v[181:182]
	v_add_f64 v[36:37], v[40:41], v[36:37]
	v_fma_f64 v[40:41], v[88:89], s[16:17], v[183:184]
	s_delay_alu instid0(VALU_DEP_1) | instskip(SKIP_1) | instid1(VALU_DEP_1)
	v_add_f64 v[38:39], v[40:41], v[38:39]
	v_fma_f64 v[40:41], v[90:91], s[12:13], -v[185:186]
	v_add_f64 v[36:37], v[40:41], v[36:37]
	v_fma_f64 v[40:41], v[92:93], s[12:13], v[187:188]
	s_delay_alu instid0(VALU_DEP_1) | instskip(SKIP_1) | instid1(VALU_DEP_1)
	v_add_f64 v[38:39], v[40:41], v[38:39]
	;; [unrolled: 5-line block ×5, first 2 shown]
	v_fma_f64 v[40:41], v[78:79], s[28:29], -v[201:202]
	v_add_f64 v[40:41], v[40:41], v[177:178]
	v_mul_f64 v[177:178], v[96:97], s[38:39]
	v_mul_f64 v[96:97], v[116:117], s[20:21]
	s_delay_alu instid0(VALU_DEP_3) | instskip(NEXT) | instid1(VALU_DEP_3)
	v_add_f64 v[40:41], v[44:45], v[40:41]
	v_fma_f64 v[42:43], v[80:81], s[28:29], v[177:178]
	v_fma_f64 v[44:45], v[84:85], s[16:17], v[205:206]
	s_delay_alu instid0(VALU_DEP_4) | instskip(NEXT) | instid1(VALU_DEP_3)
	v_fma_f64 v[102:103], v[82:83], s[4:5], -v[96:97]
	v_add_f64 v[42:43], v[42:43], v[50:51]
	v_fma_f64 v[50:51], v[80:81], s[16:17], v[54:55]
	v_fma_f64 v[54:55], v[80:81], s[16:17], -v[54:55]
	s_delay_alu instid0(VALU_DEP_3) | instskip(SKIP_1) | instid1(VALU_DEP_4)
	v_add_f64 v[42:43], v[44:45], v[42:43]
	v_fma_f64 v[44:45], v[86:87], s[4:5], -v[207:208]
	v_add_f64 v[50:51], v[50:51], v[170:171]
	s_delay_alu instid0(VALU_DEP_4) | instskip(SKIP_4) | instid1(VALU_DEP_1)
	v_add_f64 v[54:55], v[54:55], v[60:61]
	v_fma_f64 v[60:61], v[82:83], s[4:5], v[96:97]
	v_fma_f64 v[96:97], v[110:111], s[10:11], -v[128:129]
	v_add_f64 v[40:41], v[44:45], v[40:41]
	v_fma_f64 v[44:45], v[88:89], s[4:5], v[209:210]
	v_add_f64 v[42:43], v[44:45], v[42:43]
	v_fma_f64 v[44:45], v[90:91], s[10:11], -v[211:212]
	s_delay_alu instid0(VALU_DEP_1) | instskip(SKIP_1) | instid1(VALU_DEP_1)
	v_add_f64 v[40:41], v[44:45], v[40:41]
	v_fma_f64 v[44:45], v[92:93], s[10:11], v[213:214]
	v_add_f64 v[42:43], v[44:45], v[42:43]
	v_fma_f64 v[44:45], v[94:95], s[24:25], -v[215:216]
	s_delay_alu instid0(VALU_DEP_1) | instskip(SKIP_1) | instid1(VALU_DEP_1)
	;; [unrolled: 5-line block ×4, first 2 shown]
	v_add_f64 v[42:43], v[42:43], v[40:41]
	v_fma_f64 v[40:41], v[110:111], s[12:13], v[225:226]
	v_add_f64 v[40:41], v[40:41], v[44:45]
	v_fma_f64 v[44:45], v[78:79], s[24:25], -v[56:57]
	v_fma_f64 v[56:57], v[78:79], s[24:25], v[56:57]
	s_delay_alu instid0(VALU_DEP_2) | instskip(SKIP_1) | instid1(VALU_DEP_3)
	v_add_f64 v[44:45], v[44:45], v[46:47]
	v_fma_f64 v[46:47], v[80:81], s[24:25], v[58:59]
	v_add_f64 v[56:57], v[56:57], v[172:173]
	v_fma_f64 v[58:59], v[80:81], s[24:25], -v[58:59]
	s_delay_alu instid0(VALU_DEP_3) | instskip(SKIP_1) | instid1(VALU_DEP_3)
	v_add_f64 v[46:47], v[46:47], v[48:49]
	v_fma_f64 v[48:49], v[82:83], s[12:13], -v[227:228]
	v_add_f64 v[58:59], v[58:59], v[62:63]
	v_fma_f64 v[62:63], v[110:111], s[22:23], -v[249:250]
	s_delay_alu instid0(VALU_DEP_3) | instskip(SKIP_1) | instid1(VALU_DEP_1)
	v_add_f64 v[44:45], v[48:49], v[44:45]
	v_fma_f64 v[48:49], v[84:85], s[12:13], v[229:230]
	v_add_f64 v[46:47], v[48:49], v[46:47]
	v_fma_f64 v[48:49], v[86:87], s[10:11], -v[231:232]
	s_delay_alu instid0(VALU_DEP_1) | instskip(SKIP_1) | instid1(VALU_DEP_1)
	v_add_f64 v[44:45], v[48:49], v[44:45]
	v_fma_f64 v[48:49], v[88:89], s[10:11], v[233:234]
	v_add_f64 v[46:47], v[48:49], v[46:47]
	v_fma_f64 v[48:49], v[90:91], s[28:29], -v[235:236]
	s_delay_alu instid0(VALU_DEP_1) | instskip(SKIP_1) | instid1(VALU_DEP_1)
	;; [unrolled: 5-line block ×5, first 2 shown]
	v_add_f64 v[46:47], v[46:47], v[44:45]
	v_fma_f64 v[44:45], v[110:111], s[22:23], v[249:250]
	v_add_f64 v[44:45], v[44:45], v[48:49]
	v_fma_f64 v[48:49], v[78:79], s[16:17], -v[52:53]
	v_fma_f64 v[52:53], v[78:79], s[16:17], v[52:53]
	s_delay_alu instid0(VALU_DEP_2) | instskip(NEXT) | instid1(VALU_DEP_2)
	v_add_f64 v[48:49], v[48:49], v[166:167]
	v_add_f64 v[52:53], v[52:53], v[158:159]
	s_delay_alu instid0(VALU_DEP_2) | instskip(SKIP_1) | instid1(VALU_DEP_3)
	v_add_f64 v[48:49], v[102:103], v[48:49]
	v_fma_f64 v[102:103], v[84:85], s[4:5], v[100:101]
	v_add_f64 v[52:53], v[60:61], v[52:53]
	v_fma_f64 v[60:61], v[84:85], s[4:5], -v[100:101]
	v_fma_f64 v[100:101], v[110:111], s[24:25], -v[199:200]
	s_delay_alu instid0(VALU_DEP_4) | instskip(SKIP_1) | instid1(VALU_DEP_4)
	v_add_f64 v[50:51], v[102:103], v[50:51]
	v_mul_f64 v[102:103], v[118:119], s[36:37]
	v_add_f64 v[54:55], v[60:61], v[54:55]
	s_delay_alu instid0(VALU_DEP_2) | instskip(SKIP_1) | instid1(VALU_DEP_2)
	v_fma_f64 v[116:117], v[86:87], s[24:25], -v[102:103]
	v_fma_f64 v[60:61], v[86:87], s[24:25], v[102:103]
	v_add_f64 v[48:49], v[116:117], v[48:49]
	v_fma_f64 v[116:117], v[88:89], s[24:25], v[112:113]
	s_delay_alu instid0(VALU_DEP_3) | instskip(SKIP_1) | instid1(VALU_DEP_3)
	v_add_f64 v[52:53], v[60:61], v[52:53]
	v_fma_f64 v[60:61], v[88:89], s[24:25], -v[112:113]
	v_add_f64 v[50:51], v[116:117], v[50:51]
	v_mul_f64 v[116:117], v[124:125], s[42:43]
	s_delay_alu instid0(VALU_DEP_3) | instskip(NEXT) | instid1(VALU_DEP_2)
	v_add_f64 v[54:55], v[60:61], v[54:55]
	v_fma_f64 v[118:119], v[90:91], s[14:15], -v[116:117]
	v_fma_f64 v[60:61], v[90:91], s[14:15], v[116:117]
	s_delay_alu instid0(VALU_DEP_2) | instskip(SKIP_1) | instid1(VALU_DEP_3)
	v_add_f64 v[48:49], v[118:119], v[48:49]
	v_fma_f64 v[118:119], v[92:93], s[14:15], v[114:115]
	v_add_f64 v[52:53], v[60:61], v[52:53]
	v_fma_f64 v[60:61], v[92:93], s[14:15], -v[114:115]
	s_delay_alu instid0(VALU_DEP_3) | instskip(SKIP_1) | instid1(VALU_DEP_3)
	v_add_f64 v[50:51], v[118:119], v[50:51]
	v_mul_f64 v[118:119], v[126:127], s[18:19]
	v_add_f64 v[54:55], v[60:61], v[54:55]
	s_delay_alu instid0(VALU_DEP_2) | instskip(SKIP_1) | instid1(VALU_DEP_2)
	v_fma_f64 v[124:125], v[94:95], s[12:13], -v[118:119]
	v_fma_f64 v[60:61], v[94:95], s[12:13], v[118:119]
	v_add_f64 v[48:49], v[124:125], v[48:49]
	v_fma_f64 v[124:125], v[98:99], s[12:13], v[120:121]
	s_delay_alu instid0(VALU_DEP_3) | instskip(SKIP_1) | instid1(VALU_DEP_3)
	v_add_f64 v[52:53], v[60:61], v[52:53]
	v_fma_f64 v[60:61], v[98:99], s[12:13], -v[120:121]
	v_add_f64 v[50:51], v[124:125], v[50:51]
	v_mul_f64 v[124:125], v[130:131], s[38:39]
	s_delay_alu instid0(VALU_DEP_3) | instskip(SKIP_1) | instid1(VALU_DEP_3)
	v_add_f64 v[54:55], v[60:61], v[54:55]
	v_mul_f64 v[130:131], v[132:133], s[0:1]
	v_fma_f64 v[60:61], v[104:105], s[28:29], v[124:125]
	v_fma_f64 v[126:127], v[104:105], s[28:29], -v[124:125]
	s_delay_alu instid0(VALU_DEP_2) | instskip(SKIP_1) | instid1(VALU_DEP_3)
	v_add_f64 v[52:53], v[60:61], v[52:53]
	v_fma_f64 v[60:61], v[106:107], s[28:29], -v[122:123]
	v_add_f64 v[48:49], v[126:127], v[48:49]
	v_fma_f64 v[126:127], v[106:107], s[28:29], v[122:123]
	s_delay_alu instid0(VALU_DEP_3) | instskip(SKIP_1) | instid1(VALU_DEP_3)
	v_add_f64 v[60:61], v[60:61], v[54:55]
	v_fma_f64 v[54:55], v[108:109], s[10:11], v[130:131]
	v_add_f64 v[126:127], v[126:127], v[50:51]
	v_fma_f64 v[50:51], v[108:109], s[10:11], -v[130:131]
	s_delay_alu instid0(VALU_DEP_3)
	v_add_f64 v[54:55], v[54:55], v[52:53]
	v_add_f64 v[52:53], v[96:97], v[60:61]
	v_fma_f64 v[60:61], v[82:83], s[12:13], v[227:228]
	v_fma_f64 v[96:97], v[110:111], s[12:13], -v[225:226]
	v_add_f64 v[50:51], v[50:51], v[48:49]
	v_fma_f64 v[48:49], v[110:111], s[10:11], v[128:129]
	s_delay_alu instid0(VALU_DEP_4) | instskip(SKIP_1) | instid1(VALU_DEP_3)
	v_add_f64 v[56:57], v[60:61], v[56:57]
	v_fma_f64 v[60:61], v[84:85], s[12:13], -v[229:230]
	v_add_f64 v[48:49], v[48:49], v[126:127]
	s_delay_alu instid0(VALU_DEP_2) | instskip(SKIP_1) | instid1(VALU_DEP_1)
	v_add_f64 v[58:59], v[60:61], v[58:59]
	v_fma_f64 v[60:61], v[86:87], s[10:11], v[231:232]
	v_add_f64 v[56:57], v[60:61], v[56:57]
	v_fma_f64 v[60:61], v[88:89], s[10:11], -v[233:234]
	s_delay_alu instid0(VALU_DEP_1) | instskip(SKIP_1) | instid1(VALU_DEP_1)
	v_add_f64 v[58:59], v[60:61], v[58:59]
	v_fma_f64 v[60:61], v[90:91], s[28:29], v[235:236]
	v_add_f64 v[56:57], v[60:61], v[56:57]
	v_fma_f64 v[60:61], v[92:93], s[28:29], -v[237:238]
	s_delay_alu instid0(VALU_DEP_1) | instskip(SKIP_1) | instid1(VALU_DEP_1)
	;; [unrolled: 5-line block ×4, first 2 shown]
	v_add_f64 v[60:61], v[60:61], v[58:59]
	v_fma_f64 v[58:59], v[108:109], s[22:23], v[247:248]
	v_add_f64 v[58:59], v[58:59], v[56:57]
	s_delay_alu instid0(VALU_DEP_3) | instskip(SKIP_2) | instid1(VALU_DEP_2)
	v_add_f64 v[56:57], v[62:63], v[60:61]
	v_fma_f64 v[60:61], v[78:79], s[28:29], v[201:202]
	v_fma_f64 v[62:63], v[80:81], s[28:29], -v[177:178]
	v_add_f64 v[60:61], v[60:61], v[175:176]
	s_delay_alu instid0(VALU_DEP_2) | instskip(SKIP_1) | instid1(VALU_DEP_1)
	v_add_f64 v[62:63], v[62:63], v[64:65]
	v_fma_f64 v[64:65], v[82:83], s[16:17], v[203:204]
	v_add_f64 v[60:61], v[64:65], v[60:61]
	v_fma_f64 v[64:65], v[84:85], s[16:17], -v[205:206]
	s_delay_alu instid0(VALU_DEP_1) | instskip(SKIP_1) | instid1(VALU_DEP_1)
	v_add_f64 v[62:63], v[64:65], v[62:63]
	v_fma_f64 v[64:65], v[86:87], s[4:5], v[207:208]
	v_add_f64 v[60:61], v[64:65], v[60:61]
	v_fma_f64 v[64:65], v[88:89], s[4:5], -v[209:210]
	s_delay_alu instid0(VALU_DEP_1) | instskip(SKIP_1) | instid1(VALU_DEP_1)
	;; [unrolled: 5-line block ×5, first 2 shown]
	v_add_f64 v[64:65], v[64:65], v[62:63]
	v_fma_f64 v[62:63], v[108:109], s[12:13], v[223:224]
	v_add_f64 v[62:63], v[62:63], v[60:61]
	s_delay_alu instid0(VALU_DEP_3) | instskip(SKIP_3) | instid1(VALU_DEP_3)
	v_add_f64 v[60:61], v[96:97], v[64:65]
	v_fma_f64 v[64:65], v[78:79], s[22:23], v[160:161]
	v_fma_f64 v[96:97], v[80:81], s[22:23], -v[162:163]
	v_fma_f64 v[78:79], v[82:83], s[22:23], v[134:135]
	v_add_f64 v[64:65], v[64:65], v[179:180]
	s_delay_alu instid0(VALU_DEP_3) | instskip(SKIP_1) | instid1(VALU_DEP_4)
	v_add_f64 v[66:67], v[96:97], v[66:67]
	v_fma_f64 v[96:97], v[82:83], s[28:29], v[164:165]
	v_add_f64 v[18:19], v[78:79], v[18:19]
	v_fma_f64 v[78:79], v[88:89], s[28:29], -v[140:141]
	s_delay_alu instid0(VALU_DEP_3) | instskip(SKIP_1) | instid1(VALU_DEP_4)
	v_add_f64 v[64:65], v[96:97], v[64:65]
	v_fma_f64 v[96:97], v[84:85], s[28:29], -v[168:169]
	v_add_f64 v[18:19], v[70:71], v[18:19]
	v_fma_f64 v[70:71], v[92:93], s[24:25], -v[144:145]
	v_add_f64 v[16:17], v[78:79], v[16:17]
	v_fma_f64 v[78:79], v[94:95], s[16:17], v[146:147]
	v_add_f64 v[66:67], v[96:97], v[66:67]
	v_fma_f64 v[96:97], v[86:87], s[16:17], v[181:182]
	v_add_f64 v[18:19], v[68:69], v[18:19]
	v_fma_f64 v[68:69], v[98:99], s[16:17], -v[148:149]
	v_add_f64 v[16:17], v[70:71], v[16:17]
	v_fma_f64 v[70:71], v[104:105], s[10:11], v[150:151]
	v_add_f64 v[64:65], v[96:97], v[64:65]
	v_fma_f64 v[96:97], v[88:89], s[16:17], -v[183:184]
	v_add_f64 v[18:19], v[78:79], v[18:19]
	v_fma_f64 v[78:79], v[106:107], s[10:11], -v[152:153]
	v_add_f64 v[16:17], v[68:69], v[16:17]
	v_fma_f64 v[68:69], v[108:109], s[4:5], v[154:155]
	v_add_f64 v[66:67], v[96:97], v[66:67]
	v_fma_f64 v[96:97], v[90:91], s[12:13], v[185:186]
	v_add_f64 v[18:19], v[70:71], v[18:19]
	v_fma_f64 v[70:71], v[110:111], s[4:5], -v[156:157]
	v_add_f64 v[16:17], v[78:79], v[16:17]
	s_delay_alu instid0(VALU_DEP_4) | instskip(SKIP_2) | instid1(VALU_DEP_4)
	v_add_f64 v[64:65], v[96:97], v[64:65]
	v_fma_f64 v[96:97], v[92:93], s[12:13], -v[187:188]
	v_add_f64 v[18:19], v[68:69], v[18:19]
	v_add_f64 v[16:17], v[70:71], v[16:17]
	v_lshl_add_u32 v68, v74, 8, v174
	s_delay_alu instid0(VALU_DEP_4) | instskip(SKIP_1) | instid1(VALU_DEP_1)
	v_add_f64 v[66:67], v[96:97], v[66:67]
	v_fma_f64 v[96:97], v[94:95], s[4:5], v[189:190]
	v_add_f64 v[64:65], v[96:97], v[64:65]
	v_fma_f64 v[96:97], v[98:99], s[4:5], -v[191:192]
	s_delay_alu instid0(VALU_DEP_1) | instskip(SKIP_1) | instid1(VALU_DEP_1)
	v_add_f64 v[66:67], v[96:97], v[66:67]
	v_fma_f64 v[96:97], v[104:105], s[14:15], v[193:194]
	v_add_f64 v[64:65], v[96:97], v[64:65]
	v_fma_f64 v[96:97], v[106:107], s[14:15], -v[195:196]
	s_delay_alu instid0(VALU_DEP_1) | instskip(SKIP_1) | instid1(VALU_DEP_1)
	v_add_f64 v[96:97], v[96:97], v[66:67]
	v_fma_f64 v[66:67], v[108:109], s[24:25], v[197:198]
	v_add_f64 v[66:67], v[66:67], v[64:65]
	s_delay_alu instid0(VALU_DEP_3)
	v_add_f64 v[64:65], v[100:101], v[96:97]
	ds_store_b128 v68, v[8:11]
	ds_store_b128 v68, v[28:31] offset:16
	ds_store_b128 v68, v[32:35] offset:32
	ds_store_b128 v68, v[36:39] offset:48
	ds_store_b128 v68, v[40:43] offset:64
	ds_store_b128 v68, v[44:47] offset:80
	ds_store_b128 v68, v[48:51] offset:96
	ds_store_b128 v68, v[24:27] offset:112
	ds_store_b128 v68, v[12:15] offset:128
	ds_store_b128 v68, v[4:7] offset:144
	ds_store_b128 v68, v[20:23] offset:160
	ds_store_b128 v68, v[52:55] offset:176
	ds_store_b128 v68, v[56:59] offset:192
	ds_store_b128 v68, v[60:63] offset:208
	ds_store_b128 v68, v[64:67] offset:224
	ds_store_b128 v68, v[16:19] offset:240
	ds_store_b128 v68, v[0:3] offset:256
.LBB0_21:
	s_or_b32 exec_lo, exec_lo, s33
	v_add_nc_u16 v81, v74, 0x66
	v_add_nc_u32_e32 v82, 0xcc, v74
	v_add_nc_u32_e32 v80, 0x132, v74
	v_and_b32_e32 v4, 0xff, v74
	v_add_nc_u32_e32 v79, 0x198, v74
	v_and_b32_e32 v84, 0xff, v81
	v_and_b32_e32 v5, 0xffff, v82
	v_add_nc_u32_e32 v75, 0x1fe, v74
	v_mul_lo_u16 v39, 0xf1, v4
	v_and_b32_e32 v6, 0xffff, v80
	v_mul_lo_u16 v35, 0xf1, v84
	v_add_nc_u32_e32 v20, 0x264, v74
	v_and_b32_e32 v7, 0xffff, v79
	v_add_nc_u32_e32 v21, 0x2ca, v74
	v_mul_u32_u24_e32 v83, 0xf0f1, v5
	v_lshrrev_b16 v40, 12, v39
	v_and_b32_e32 v12, 0xffff, v75
	v_mul_u32_u24_e32 v86, 0xf0f1, v6
	v_lshrrev_b16 v22, 12, v35
	v_and_b32_e32 v13, 0xffff, v20
	v_mul_u32_u24_e32 v85, 0xf0f1, v7
	v_lshrrev_b32_e32 v23, 20, v83
	v_and_b32_e32 v14, 0xffff, v21
	v_mul_lo_u16 v4, v40, 17
	v_lshrrev_b32_e32 v32, 20, v86
	v_mul_u32_u24_e32 v78, 0xf0f1, v12
	v_mul_lo_u16 v5, v22, 17
	v_lshrrev_b32_e32 v33, 20, v85
	v_mul_u32_u24_e32 v41, 0xf0f1, v13
	v_mul_lo_u16 v8, v23, 17
	v_mul_u32_u24_e32 v38, 0xf0f1, v14
	v_sub_nc_u16 v4, v74, v4
	v_mul_lo_u16 v12, v32, 17
	v_lshrrev_b32_e32 v34, 20, v78
	v_sub_nc_u16 v5, v81, v5
	v_mul_lo_u16 v13, v33, 17
	v_lshrrev_b32_e32 v36, 20, v41
	v_sub_nc_u16 v8, v82, v8
	v_lshrrev_b32_e32 v37, 20, v38
	v_and_b32_e32 v4, 0xff, v4
	v_sub_nc_u16 v12, v80, v12
	v_mul_lo_u16 v14, v34, 17
	v_and_b32_e32 v5, 0xff, v5
	v_sub_nc_u16 v13, v79, v13
	v_mul_lo_u16 v15, v36, 17
	v_and_b32_e32 v6, 0xffff, v8
	v_mul_lo_u16 v16, v37, 17
	v_lshlrev_b32_e32 v26, 4, v4
	v_and_b32_e32 v12, 0xffff, v12
	v_sub_nc_u16 v14, v75, v14
	v_lshlrev_b32_e32 v24, 4, v5
	v_and_b32_e32 v13, 0xffff, v13
	v_sub_nc_u16 v15, v20, v15
	v_lshlrev_b32_e32 v25, 4, v6
	v_sub_nc_u16 v16, v21, v16
	s_waitcnt lgkmcnt(0)
	s_barrier
	buffer_gl0_inv
	s_clause 0x1
	global_load_b128 v[4:7], v26, s[8:9]
	global_load_b128 v[8:11], v24, s[8:9]
	v_lshlrev_b32_e32 v27, 4, v12
	v_and_b32_e32 v17, 0xffff, v14
	v_lshlrev_b32_e32 v28, 4, v13
	v_and_b32_e32 v30, 0xffff, v15
	v_and_b32_e32 v31, 0xffff, v16
	global_load_b128 v[12:15], v25, s[8:9]
	v_lshlrev_b32_e32 v29, 4, v17
	global_load_b128 v[16:19], v27, s[8:9]
	v_lshlrev_b32_e32 v30, 4, v30
	;; [unrolled: 2-line block ×3, first 2 shown]
	s_clause 0x2
	global_load_b128 v[46:49], v29, s[8:9]
	global_load_b128 v[50:53], v30, s[8:9]
	;; [unrolled: 1-line block ×3, first 2 shown]
	ds_load_b128 v[58:61], v174 offset:13056
	ds_load_b128 v[62:65], v174 offset:14688
	;; [unrolled: 1-line block ×8, first 2 shown]
	v_and_b32_e32 v22, 0xffff, v22
	v_mul_u32_u24_e32 v23, 0x220, v23
	v_mul_u32_u24_e32 v36, 0x220, v36
	;; [unrolled: 1-line block ×3, first 2 shown]
	v_cmp_gt_u32_e64 s0, 34, v74
	v_mul_u32_u24_e32 v22, 0x220, v22
	v_add3_u32 v23, 0, v23, v25
	s_delay_alu instid0(VALU_DEP_2)
	v_add3_u32 v22, 0, v22, v24
	s_waitcnt vmcnt(7) lgkmcnt(7)
	v_mul_f64 v[70:71], v[60:61], v[6:7]
	v_mul_f64 v[6:7], v[58:59], v[6:7]
	s_waitcnt vmcnt(6) lgkmcnt(6)
	v_mul_f64 v[107:108], v[64:65], v[10:11]
	v_mul_f64 v[10:11], v[62:63], v[10:11]
	;; [unrolled: 3-line block ×8, first 2 shown]
	v_fma_f64 v[58:59], v[58:59], v[4:5], v[70:71]
	v_fma_f64 v[60:61], v[60:61], v[4:5], -v[6:7]
	v_fma_f64 v[62:63], v[62:63], v[8:9], v[107:108]
	v_fma_f64 v[64:65], v[64:65], v[8:9], -v[10:11]
	;; [unrolled: 2-line block ×8, first 2 shown]
	ds_load_b128 v[16:19], v174
	ds_load_b128 v[12:15], v174 offset:1632
	ds_load_b128 v[8:11], v174 offset:3264
	;; [unrolled: 1-line block ×7, first 2 shown]
	v_lshrrev_b16 v111, 13, v39
	v_and_b32_e32 v39, 0xffff, v40
	v_lshrrev_b32_e32 v117, 21, v41
	v_lshrrev_b32_e32 v118, 21, v38
	v_lshrrev_b16 v112, 13, v35
	v_mul_lo_u16 v105, v111, 34
	v_mul_u32_u24_e32 v106, 0x220, v39
	v_lshrrev_b32_e32 v113, 21, v83
	v_lshrrev_b32_e32 v114, 21, v86
	;; [unrolled: 1-line block ×4, first 2 shown]
	v_mul_lo_u16 v108, v118, 34
	v_mul_lo_u16 v107, v117, 34
	;; [unrolled: 1-line block ×3, first 2 shown]
	s_waitcnt lgkmcnt(0)
	s_barrier
	v_sub_nc_u16 v21, v21, v108
	v_add_f64 v[38:39], v[16:17], -v[58:59]
	v_add_f64 v[40:41], v[18:19], -v[60:61]
	;; [unrolled: 1-line block ×4, first 2 shown]
	v_sub_nc_u16 v120, v80, v35
	v_sub_nc_u16 v20, v20, v107
	buffer_gl0_inv
	v_add_f64 v[62:63], v[8:9], -v[66:67]
	v_add_f64 v[64:65], v[10:11], -v[68:69]
	;; [unrolled: 1-line block ×12, first 2 shown]
	v_mul_u32_u24_e32 v70, 0x220, v32
	v_mul_u32_u24_e32 v71, 0x220, v33
	;; [unrolled: 1-line block ×3, first 2 shown]
	v_sub_nc_u16 v32, v74, v105
	v_mul_lo_u16 v33, v112, 34
	v_mul_lo_u16 v34, v113, 34
	;; [unrolled: 1-line block ×4, first 2 shown]
	v_and_b32_e32 v109, 0xff, v32
	v_sub_nc_u16 v110, v81, v33
	v_sub_nc_u16 v119, v82, v34
	;; [unrolled: 1-line block ×4, first 2 shown]
	v_lshlrev_b32_e32 v121, 4, v109
	v_add3_u32 v24, 0, v70, v27
	v_add3_u32 v25, 0, v71, v28
	;; [unrolled: 1-line block ×4, first 2 shown]
	v_and_b32_e32 v20, 0xffff, v20
	v_fma_f64 v[16:17], v[16:17], 2.0, -v[38:39]
	v_fma_f64 v[18:19], v[18:19], 2.0, -v[40:41]
	;; [unrolled: 1-line block ×4, first 2 shown]
	v_lshlrev_b32_e32 v125, 4, v20
	v_fma_f64 v[8:9], v[8:9], 2.0, -v[62:63]
	v_fma_f64 v[10:11], v[10:11], 2.0, -v[64:65]
	;; [unrolled: 1-line block ×12, first 2 shown]
	v_and_b32_e32 v54, 0xff, v110
	v_and_b32_e32 v55, 0xffff, v119
	;; [unrolled: 1-line block ×5, first 2 shown]
	v_add3_u32 v21, 0, v106, v26
	v_and_b32_e32 v56, 0xffff, v120
	v_lshlrev_b32_e32 v119, 4, v54
	v_lshlrev_b32_e32 v120, 4, v55
	v_add3_u32 v26, 0, v103, v29
	ds_store_b128 v21, v[16:19]
	ds_store_b128 v21, v[38:41] offset:272
	ds_store_b128 v22, v[12:15]
	ds_store_b128 v22, v[58:61] offset:272
	;; [unrolled: 2-line block ×8, first 2 shown]
	s_waitcnt lgkmcnt(0)
	s_barrier
	buffer_gl0_inv
	global_load_b128 v[4:7], v121, s[8:9] offset:272
	v_lshlrev_b32_e32 v122, 4, v56
	s_clause 0x1
	global_load_b128 v[8:11], v119, s[8:9] offset:272
	global_load_b128 v[12:15], v120, s[8:9] offset:272
	v_lshlrev_b32_e32 v123, 4, v57
	v_lshlrev_b32_e32 v124, 4, v104
	global_load_b128 v[16:19], v122, s[8:9] offset:272
	v_lshlrev_b32_e32 v126, 4, v105
	s_clause 0x3
	global_load_b128 v[20:23], v123, s[8:9] offset:272
	global_load_b128 v[24:27], v124, s[8:9] offset:272
	;; [unrolled: 1-line block ×4, first 2 shown]
	ds_load_b128 v[36:39], v174 offset:13056
	ds_load_b128 v[40:43], v174 offset:14688
	;; [unrolled: 1-line block ×8, first 2 shown]
	s_waitcnt vmcnt(7) lgkmcnt(7)
	v_mul_f64 v[68:69], v[38:39], v[6:7]
	v_mul_f64 v[6:7], v[36:37], v[6:7]
	s_waitcnt vmcnt(6) lgkmcnt(6)
	v_mul_f64 v[70:71], v[42:43], v[10:11]
	v_mul_f64 v[10:11], v[40:41], v[10:11]
	;; [unrolled: 3-line block ×5, first 2 shown]
	v_mul_f64 v[22:23], v[52:53], v[22:23]
	v_mul_f64 v[26:27], v[56:57], v[26:27]
	s_waitcnt vmcnt(1) lgkmcnt(1)
	v_mul_f64 v[95:96], v[62:63], v[30:31]
	v_mul_f64 v[30:31], v[60:61], v[30:31]
	s_waitcnt vmcnt(0) lgkmcnt(0)
	v_mul_f64 v[97:98], v[66:67], v[34:35]
	v_mul_f64 v[34:35], v[64:65], v[34:35]
	v_fma_f64 v[68:69], v[36:37], v[4:5], v[68:69]
	v_fma_f64 v[4:5], v[38:39], v[4:5], -v[6:7]
	v_fma_f64 v[6:7], v[40:41], v[8:9], v[70:71]
	v_fma_f64 v[70:71], v[42:43], v[8:9], -v[10:11]
	;; [unrolled: 2-line block ×4, first 2 shown]
	v_fma_f64 v[93:94], v[56:57], v[24:25], v[93:94]
	v_fma_f64 v[91:92], v[52:53], v[20:21], v[91:92]
	v_fma_f64 v[103:104], v[54:55], v[20:21], -v[22:23]
	v_fma_f64 v[105:106], v[58:59], v[24:25], -v[26:27]
	v_fma_f64 v[95:96], v[60:61], v[28:29], v[95:96]
	v_fma_f64 v[107:108], v[62:63], v[28:29], -v[30:31]
	v_fma_f64 v[97:98], v[64:65], v[32:33], v[97:98]
	v_fma_f64 v[109:110], v[66:67], v[32:33], -v[34:35]
	ds_load_b128 v[8:11], v174
	ds_load_b128 v[12:15], v174 offset:1632
	ds_load_b128 v[16:19], v174 offset:3264
	;; [unrolled: 1-line block ×7, first 2 shown]
	s_waitcnt lgkmcnt(0)
	s_barrier
	buffer_gl0_inv
	v_add_f64 v[40:41], v[8:9], -v[68:69]
	v_add_f64 v[42:43], v[10:11], -v[4:5]
	;; [unrolled: 1-line block ×16, first 2 shown]
	v_and_b32_e32 v68, 0xffff, v111
	v_and_b32_e32 v69, 0xffff, v112
	v_mul_u32_u24_e32 v70, 0x440, v113
	v_mul_u32_u24_e32 v71, 0x440, v114
	v_mul_u32_u24_e32 v87, 0x440, v115
	v_mul_u32_u24_e32 v68, 0x440, v68
	v_mul_u32_u24_e32 v69, 0x440, v69
	v_mul_u32_u24_e32 v88, 0x440, v116
	v_mul_u32_u24_e32 v89, 0x440, v117
	v_mul_u32_u24_e32 v90, 0x440, v118
	v_add3_u32 v68, 0, v68, v121
	v_add3_u32 v69, 0, v69, v119
	;; [unrolled: 1-line block ×8, first 2 shown]
	v_fma_f64 v[8:9], v[8:9], 2.0, -v[40:41]
	v_fma_f64 v[10:11], v[10:11], 2.0, -v[42:43]
	;; [unrolled: 1-line block ×16, first 2 shown]
	ds_store_b128 v68, v[8:11]
	ds_store_b128 v68, v[40:43] offset:544
	ds_store_b128 v69, v[12:15]
	ds_store_b128 v69, v[44:47] offset:544
	;; [unrolled: 2-line block ×8, first 2 shown]
	s_waitcnt lgkmcnt(0)
	s_barrier
	buffer_gl0_inv
	ds_load_b128 v[16:19], v174
	ds_load_b128 v[12:15], v174 offset:1632
	ds_load_b128 v[36:39], v174 offset:17408
	;; [unrolled: 1-line block ×14, first 2 shown]
                                        ; implicit-def: $vgpr10_vgpr11
	s_and_saveexec_b32 s1, s0
	s_cbranch_execz .LBB0_23
; %bb.22:
	ds_load_b128 v[4:7], v174 offset:8160
	ds_load_b128 v[0:3], v174 offset:16864
	;; [unrolled: 1-line block ×3, first 2 shown]
.LBB0_23:
	s_or_b32 exec_lo, exec_lo, s1
	v_mul_lo_u16 v84, 0x79, v84
	v_lshrrev_b32_e32 v140, 22, v83
	v_add_nc_u32_e32 v83, 0xffffffbc, v74
	v_cmp_gt_u32_e64 s1, 0x44, v74
	v_lshrrev_b32_e32 v143, 22, v86
	v_lshrrev_b16 v141, 13, v84
	v_mul_lo_u16 v84, 0x44, v140
	v_lshrrev_b32_e32 v144, 22, v85
	v_cndmask_b32_e64 v142, v83, v74, s1
	v_mov_b32_e32 v83, 0
	v_mul_lo_u16 v86, 0x44, v141
	v_sub_nc_u16 v84, v82, v84
	v_mul_lo_u16 v85, 0x44, v143
	v_lshlrev_b32_e32 v82, 1, v142
	v_mul_lo_u16 v88, 0x44, v144
	v_sub_nc_u16 v86, v81, v86
	v_and_b32_e32 v145, 0xffff, v84
	v_sub_nc_u16 v89, v80, v85
	v_lshlrev_b64 v[81:82], 4, v[82:83]
	v_sub_nc_u16 v79, v79, v88
	v_and_b32_e32 v146, 0xff, v86
	v_lshlrev_b32_e32 v84, 5, v145
	v_and_b32_e32 v147, 0xffff, v89
	s_mov_b32 s4, 0xe8584caa
	v_add_co_u32 v92, s1, s8, v81
	s_delay_alu instid0(VALU_DEP_1)
	v_add_co_ci_u32_e64 v93, s1, s9, v82, s1
	v_lshlrev_b32_e32 v100, 5, v146
	s_clause 0x4
	global_load_b128 v[80:83], v84, s[8:9] offset:832
	global_load_b128 v[84:87], v84, s[8:9] offset:816
	global_load_b128 v[88:91], v[92:93], off offset:816
	global_load_b128 v[92:95], v[92:93], off offset:832
	global_load_b128 v[96:99], v100, s[8:9] offset:816
	v_and_b32_e32 v148, 0xffff, v79
	global_load_b128 v[100:103], v100, s[8:9] offset:832
	v_lshlrev_b32_e32 v79, 5, v147
	s_mov_b32 s5, 0xbfebb67a
	s_mov_b32 s11, 0x3febb67a
	v_lshlrev_b32_e32 v116, 5, v148
	s_clause 0x3
	global_load_b128 v[104:107], v79, s[8:9] offset:816
	global_load_b128 v[108:111], v79, s[8:9] offset:832
	;; [unrolled: 1-line block ×4, first 2 shown]
	s_mov_b32 s10, s4
	v_cmp_lt_u32_e64 s1, 0x43, v74
	s_waitcnt vmcnt(0) lgkmcnt(0)
	s_barrier
	buffer_gl0_inv
	v_mul_f64 v[122:123], v[70:71], v[82:83]
	v_mul_f64 v[124:125], v[66:67], v[90:91]
	;; [unrolled: 1-line block ×20, first 2 shown]
	v_fma_f64 v[68:69], v[68:69], v[80:81], v[122:123]
	v_fma_f64 v[64:65], v[64:65], v[88:89], v[124:125]
	;; [unrolled: 1-line block ×3, first 2 shown]
	v_fma_f64 v[66:67], v[66:67], v[88:89], -v[90:91]
	v_fma_f64 v[38:39], v[38:39], v[92:93], -v[94:95]
	v_fma_f64 v[40:41], v[40:41], v[96:97], v[128:129]
	v_fma_f64 v[32:33], v[32:33], v[100:101], v[130:131]
	v_fma_f64 v[42:43], v[42:43], v[96:97], -v[98:99]
	v_fma_f64 v[34:35], v[34:35], v[100:101], -v[102:103]
	v_fma_f64 v[60:61], v[60:61], v[84:85], v[120:121]
	v_fma_f64 v[62:63], v[62:63], v[84:85], -v[86:87]
	v_fma_f64 v[70:71], v[70:71], v[80:81], -v[82:83]
	v_fma_f64 v[56:57], v[56:57], v[104:105], v[132:133]
	v_fma_f64 v[44:45], v[44:45], v[108:109], v[134:135]
	v_fma_f64 v[58:59], v[58:59], v[104:105], -v[106:107]
	v_fma_f64 v[46:47], v[46:47], v[108:109], -v[110:111]
	v_fma_f64 v[48:49], v[48:49], v[112:113], v[136:137]
	v_fma_f64 v[52:53], v[52:53], v[116:117], v[138:139]
	v_fma_f64 v[50:51], v[50:51], v[112:113], -v[114:115]
	v_fma_f64 v[54:55], v[54:55], v[116:117], -v[118:119]
	v_add_f64 v[111:112], v[16:17], v[64:65]
	v_add_f64 v[83:84], v[64:65], v[36:37]
	;; [unrolled: 1-line block ×4, first 2 shown]
	v_add_f64 v[66:67], v[66:67], -v[38:39]
	v_add_f64 v[87:88], v[40:41], v[32:33]
	v_add_f64 v[64:65], v[64:65], -v[36:37]
	v_add_f64 v[89:90], v[42:43], v[34:35]
	v_add_f64 v[79:80], v[60:61], v[68:69]
	;; [unrolled: 1-line block ×10, first 2 shown]
	v_add_f64 v[119:120], v[42:43], -v[34:35]
	v_add_f64 v[97:98], v[50:51], v[54:55]
	v_add_f64 v[121:122], v[40:41], -v[32:33]
	v_add_f64 v[107:108], v[24:25], v[48:49]
	v_add_f64 v[109:110], v[26:27], v[50:51]
	;; [unrolled: 1-line block ×3, first 2 shown]
	v_add_f64 v[101:102], v[62:63], -v[70:71]
	v_add_f64 v[62:63], v[30:31], v[62:63]
	v_add_f64 v[60:61], v[60:61], -v[68:69]
	v_add_f64 v[58:59], v[58:59], -v[46:47]
	;; [unrolled: 1-line block ×5, first 2 shown]
	v_fma_f64 v[83:84], v[83:84], -0.5, v[16:17]
	v_fma_f64 v[85:86], v[85:86], -0.5, v[18:19]
	;; [unrolled: 1-line block ×5, first 2 shown]
	v_add_f64 v[28:29], v[115:116], v[32:33]
	v_fma_f64 v[81:82], v[81:82], -0.5, v[30:31]
	v_add_f64 v[16:17], v[103:104], v[44:45]
	v_fma_f64 v[91:92], v[91:92], -0.5, v[20:21]
	;; [unrolled: 2-line block ×5, first 2 shown]
	v_add_f64 v[26:27], v[113:114], v[38:39]
	v_add_f64 v[20:21], v[107:108], v[52:53]
	;; [unrolled: 1-line block ×5, first 2 shown]
	v_fma_f64 v[40:41], v[66:67], s[4:5], v[83:84]
	v_fma_f64 v[44:45], v[66:67], s[10:11], v[83:84]
	;; [unrolled: 1-line block ×20, first 2 shown]
	v_cndmask_b32_e64 v79, 0, 0xcc0, s1
	v_lshlrev_b32_e32 v80, 4, v142
	v_and_b32_e32 v84, 0xffff, v141
	v_mul_u32_u24_e32 v81, 0xcc0, v140
	v_mul_u32_u24_e32 v82, 0xcc0, v143
	v_mul_u32_u24_e32 v83, 0xcc0, v144
	v_add3_u32 v79, 0, v79, v80
	v_lshlrev_b32_e32 v80, 4, v145
	v_lshlrev_b32_e32 v85, 4, v147
	;; [unrolled: 1-line block ×3, first 2 shown]
	v_mul_u32_u24_e32 v84, 0xcc0, v84
	v_lshlrev_b32_e32 v87, 4, v146
	v_add3_u32 v80, 0, v81, v80
	v_add3_u32 v81, 0, v82, v85
	;; [unrolled: 1-line block ×3, first 2 shown]
	s_delay_alu instid0(VALU_DEP_4)
	v_add3_u32 v83, 0, v84, v87
	ds_store_b128 v79, v[24:27]
	ds_store_b128 v79, v[40:43] offset:1088
	ds_store_b128 v79, v[44:47] offset:2176
	ds_store_b128 v83, v[28:31]
	ds_store_b128 v83, v[48:51] offset:1088
	ds_store_b128 v83, v[52:55] offset:2176
	;; [unrolled: 3-line block ×5, first 2 shown]
	s_and_saveexec_b32 s1, s0
	s_cbranch_execz .LBB0_25
; %bb.24:
	v_lshrrev_b32_e32 v12, 22, v78
	s_delay_alu instid0(VALU_DEP_1) | instskip(NEXT) | instid1(VALU_DEP_1)
	v_mul_lo_u16 v12, 0x44, v12
	v_sub_nc_u16 v12, v75, v12
	s_delay_alu instid0(VALU_DEP_1) | instskip(NEXT) | instid1(VALU_DEP_1)
	v_and_b32_e32 v24, 0xffff, v12
	v_lshlrev_b32_e32 v16, 5, v24
	s_clause 0x1
	global_load_b128 v[12:15], v16, s[8:9] offset:816
	global_load_b128 v[16:19], v16, s[8:9] offset:832
	s_waitcnt vmcnt(1)
	v_mul_f64 v[20:21], v[0:1], v[14:15]
	s_waitcnt vmcnt(0)
	v_mul_f64 v[22:23], v[8:9], v[18:19]
	v_mul_f64 v[14:15], v[2:3], v[14:15]
	;; [unrolled: 1-line block ×3, first 2 shown]
	s_delay_alu instid0(VALU_DEP_4) | instskip(NEXT) | instid1(VALU_DEP_4)
	v_fma_f64 v[2:3], v[2:3], v[12:13], -v[20:21]
	v_fma_f64 v[10:11], v[10:11], v[16:17], -v[22:23]
	s_delay_alu instid0(VALU_DEP_4) | instskip(NEXT) | instid1(VALU_DEP_4)
	v_fma_f64 v[0:1], v[0:1], v[12:13], v[14:15]
	v_fma_f64 v[8:9], v[8:9], v[16:17], v[18:19]
	s_delay_alu instid0(VALU_DEP_4) | instskip(NEXT) | instid1(VALU_DEP_4)
	v_add_f64 v[18:19], v[6:7], v[2:3]
	v_add_f64 v[12:13], v[2:3], v[10:11]
	v_add_f64 v[20:21], v[2:3], -v[10:11]
	s_delay_alu instid0(VALU_DEP_4)
	v_add_f64 v[14:15], v[0:1], v[8:9]
	v_add_f64 v[16:17], v[0:1], -v[8:9]
	v_add_f64 v[0:1], v[4:5], v[0:1]
	v_add_f64 v[2:3], v[18:19], v[10:11]
	v_fma_f64 v[12:13], v[12:13], -0.5, v[6:7]
	v_fma_f64 v[4:5], v[14:15], -0.5, v[4:5]
	s_delay_alu instid0(VALU_DEP_4) | instskip(NEXT) | instid1(VALU_DEP_3)
	v_add_f64 v[0:1], v[0:1], v[8:9]
	v_fma_f64 v[10:11], v[16:17], s[10:11], v[12:13]
	v_fma_f64 v[6:7], v[16:17], s[4:5], v[12:13]
	s_delay_alu instid0(VALU_DEP_4)
	v_fma_f64 v[8:9], v[20:21], s[4:5], v[4:5]
	v_fma_f64 v[4:5], v[20:21], s[10:11], v[4:5]
	v_lshl_add_u32 v12, v24, 4, 0
	ds_store_b128 v12, v[0:3] offset:22848
	ds_store_b128 v12, v[8:11] offset:23936
	;; [unrolled: 1-line block ×3, first 2 shown]
.LBB0_25:
	s_or_b32 exec_lo, exec_lo, s1
	v_mul_u32_u24_e32 v0, 7, v74
	s_waitcnt lgkmcnt(0)
	s_barrier
	buffer_gl0_inv
	s_mov_b32 s5, 0x3fe6a09e
	v_lshlrev_b32_e32 v24, 4, v0
	s_clause 0x1
	global_load_b128 v[0:3], v24, s[8:9] offset:3008
	global_load_b128 v[4:7], v24, s[8:9] offset:2992
	v_add_co_u32 v25, s0, s8, v24
	s_delay_alu instid0(VALU_DEP_1)
	v_add_co_ci_u32_e64 v26, null, s9, 0, s0
	s_clause 0x3
	global_load_b128 v[8:11], v24, s[8:9] offset:3040
	global_load_b128 v[12:15], v24, s[8:9] offset:3024
	;; [unrolled: 1-line block ×4, first 2 shown]
	v_add_co_u32 v52, s0, 0x2ca0, v25
	s_delay_alu instid0(VALU_DEP_1)
	v_add_co_ci_u32_e64 v53, s0, 0, v26, s0
	s_mov_b32 s0, 0x667f3bcd
	s_clause 0x7
	global_load_b128 v[24:27], v24, s[8:9] offset:3088
	global_load_b128 v[28:31], v[52:53], off offset:2992
	global_load_b128 v[32:35], v[52:53], off offset:3008
	;; [unrolled: 1-line block ×7, first 2 shown]
	ds_load_b128 v[56:59], v174 offset:3264
	ds_load_b128 v[60:63], v174 offset:6528
	;; [unrolled: 1-line block ×14, first 2 shown]
	s_mov_b32 s1, 0xbfe6a09e
	s_mov_b32 s4, s0
	s_waitcnt vmcnt(13) lgkmcnt(12)
	v_mul_f64 v[120:121], v[62:63], v[2:3]
	s_waitcnt vmcnt(12)
	v_mul_f64 v[118:119], v[58:59], v[6:7]
	v_mul_f64 v[6:7], v[56:57], v[6:7]
	v_mul_f64 v[2:3], v[60:61], v[2:3]
	s_waitcnt vmcnt(10) lgkmcnt(11)
	v_mul_f64 v[122:123], v[66:67], v[14:15]
	v_mul_f64 v[14:15], v[64:65], v[14:15]
	s_waitcnt lgkmcnt(10)
	v_mul_f64 v[124:125], v[70:71], v[10:11]
	v_mul_f64 v[10:11], v[68:69], v[10:11]
	s_waitcnt vmcnt(8) lgkmcnt(9)
	v_mul_f64 v[126:127], v[80:81], v[22:23]
	s_waitcnt lgkmcnt(8)
	v_mul_f64 v[128:129], v[84:85], v[18:19]
	v_mul_f64 v[18:19], v[82:83], v[18:19]
	v_mul_f64 v[22:23], v[78:79], v[22:23]
	s_waitcnt vmcnt(7) lgkmcnt(7)
	v_mul_f64 v[130:131], v[88:89], v[26:27]
	v_mul_f64 v[26:27], v[86:87], v[26:27]
	s_waitcnt vmcnt(6) lgkmcnt(6)
	v_mul_f64 v[132:133], v[92:93], v[30:31]
	v_mul_f64 v[30:31], v[90:91], v[30:31]
	;; [unrolled: 3-line block ×3, first 2 shown]
	s_waitcnt vmcnt(4) lgkmcnt(4)
	v_mul_f64 v[136:137], v[100:101], v[38:39]
	s_waitcnt vmcnt(3) lgkmcnt(3)
	v_mul_f64 v[138:139], v[104:105], v[42:43]
	v_mul_f64 v[42:43], v[102:103], v[42:43]
	s_waitcnt vmcnt(2) lgkmcnt(1)
	v_mul_f64 v[140:141], v[112:113], v[46:47]
	v_mul_f64 v[46:47], v[110:111], v[46:47]
	s_waitcnt vmcnt(1)
	v_mul_f64 v[142:143], v[108:109], v[50:51]
	v_mul_f64 v[50:51], v[106:107], v[50:51]
	;; [unrolled: 1-line block ×3, first 2 shown]
	s_waitcnt vmcnt(0) lgkmcnt(0)
	v_mul_f64 v[144:145], v[116:117], v[54:55]
	v_mul_f64 v[54:55], v[114:115], v[54:55]
	v_fma_f64 v[60:61], v[60:61], v[0:1], v[120:121]
	v_fma_f64 v[56:57], v[56:57], v[4:5], v[118:119]
	v_fma_f64 v[58:59], v[58:59], v[4:5], -v[6:7]
	v_fma_f64 v[62:63], v[62:63], v[0:1], -v[2:3]
	v_fma_f64 v[64:65], v[64:65], v[12:13], v[122:123]
	v_fma_f64 v[12:13], v[66:67], v[12:13], -v[14:15]
	v_fma_f64 v[14:15], v[68:69], v[8:9], v[124:125]
	;; [unrolled: 2-line block ×3, first 2 shown]
	v_fma_f64 v[66:67], v[82:83], v[16:17], v[128:129]
	v_fma_f64 v[16:17], v[84:85], v[16:17], -v[18:19]
	v_fma_f64 v[18:19], v[80:81], v[20:21], -v[22:23]
	v_fma_f64 v[20:21], v[86:87], v[24:25], v[130:131]
	v_fma_f64 v[22:23], v[88:89], v[24:25], -v[26:27]
	v_fma_f64 v[24:25], v[90:91], v[28:29], v[132:133]
	v_fma_f64 v[26:27], v[92:93], v[28:29], -v[30:31]
	v_fma_f64 v[28:29], v[94:95], v[32:33], v[134:135]
	v_fma_f64 v[30:31], v[96:97], v[32:33], -v[34:35]
	v_fma_f64 v[32:33], v[98:99], v[36:37], v[136:137]
	v_fma_f64 v[34:35], v[102:103], v[40:41], v[138:139]
	v_fma_f64 v[40:41], v[104:105], v[40:41], -v[42:43]
	v_fma_f64 v[42:43], v[110:111], v[44:45], v[140:141]
	v_fma_f64 v[44:45], v[112:113], v[44:45], -v[46:47]
	;; [unrolled: 2-line block ×3, first 2 shown]
	v_fma_f64 v[36:37], v[100:101], v[36:37], -v[38:39]
	v_fma_f64 v[38:39], v[114:115], v[52:53], v[144:145]
	v_fma_f64 v[50:51], v[116:117], v[52:53], -v[54:55]
	ds_load_b128 v[0:3], v174
	ds_load_b128 v[4:7], v174 offset:1632
	s_waitcnt lgkmcnt(0)
	s_barrier
	buffer_gl0_inv
	v_add_f64 v[10:11], v[56:57], -v[10:11]
	v_add_f64 v[52:53], v[60:61], -v[66:67]
	;; [unrolled: 1-line block ×16, first 2 shown]
	v_fma_f64 v[56:57], v[56:57], 2.0, -v[10:11]
	v_fma_f64 v[54:55], v[60:61], 2.0, -v[52:53]
	;; [unrolled: 1-line block ×8, first 2 shown]
	v_add_f64 v[52:53], v[8:9], -v[52:53]
	v_add_f64 v[64:65], v[14:15], v[16:17]
	v_add_f64 v[16:17], v[10:11], v[22:23]
	v_fma_f64 v[4:5], v[4:5], 2.0, -v[34:35]
	v_fma_f64 v[6:7], v[6:7], 2.0, -v[40:41]
	;; [unrolled: 1-line block ×6, first 2 shown]
	v_add_f64 v[20:21], v[18:19], -v[20:21]
	v_fma_f64 v[30:31], v[32:33], 2.0, -v[38:39]
	v_fma_f64 v[32:33], v[36:37], 2.0, -v[50:51]
	v_add_f64 v[44:45], v[34:35], v[44:45]
	v_add_f64 v[66:67], v[40:41], -v[42:43]
	v_add_f64 v[36:37], v[46:47], v[50:51]
	v_add_f64 v[38:39], v[48:49], -v[38:39]
	v_add_f64 v[42:43], v[0:1], -v[54:55]
	;; [unrolled: 1-line block ×4, first 2 shown]
	v_fma_f64 v[60:61], v[8:9], 2.0, -v[52:53]
	v_add_f64 v[8:9], v[56:57], -v[62:63]
	v_fma_f64 v[54:55], v[14:15], 2.0, -v[64:65]
	v_fma_f64 v[62:63], v[10:11], 2.0, -v[16:17]
	v_add_f64 v[70:71], v[4:5], -v[22:23]
	v_add_f64 v[78:79], v[6:7], -v[28:29]
	v_fma_f64 v[68:69], v[18:19], 2.0, -v[20:21]
	v_add_f64 v[10:11], v[24:25], -v[30:31]
	v_add_f64 v[14:15], v[26:27], -v[32:33]
	v_fma_f64 v[80:81], v[34:35], 2.0, -v[44:45]
	v_fma_f64 v[82:83], v[40:41], 2.0, -v[66:67]
	;; [unrolled: 1-line block ×4, first 2 shown]
	v_fma_f64 v[18:19], v[16:17], s[4:5], v[64:65]
	v_fma_f64 v[22:23], v[20:21], s[4:5], v[52:53]
	;; [unrolled: 1-line block ×4, first 2 shown]
	v_fma_f64 v[48:49], v[0:1], 2.0, -v[42:43]
	v_fma_f64 v[84:85], v[2:3], 2.0, -v[50:51]
	;; [unrolled: 1-line block ×3, first 2 shown]
	v_add_f64 v[0:1], v[42:43], v[12:13]
	v_fma_f64 v[40:41], v[56:57], 2.0, -v[8:9]
	v_add_f64 v[2:3], v[50:51], -v[8:9]
	v_fma_f64 v[56:57], v[62:63], s[0:1], v[54:55]
	v_fma_f64 v[86:87], v[4:5], 2.0, -v[70:71]
	v_fma_f64 v[88:89], v[6:7], 2.0, -v[78:79]
	v_fma_f64 v[58:59], v[68:69], s[0:1], v[60:61]
	v_fma_f64 v[24:25], v[24:25], 2.0, -v[10:11]
	v_fma_f64 v[26:27], v[26:27], 2.0, -v[14:15]
	v_add_f64 v[8:9], v[70:71], v[14:15]
	v_add_f64 v[10:11], v[78:79], -v[10:11]
	v_fma_f64 v[90:91], v[30:31], s[0:1], v[80:81]
	v_fma_f64 v[92:93], v[28:29], s[0:1], v[82:83]
	;; [unrolled: 1-line block ×6, first 2 shown]
	v_add_f64 v[18:19], v[84:85], -v[46:47]
	v_fma_f64 v[32:33], v[42:43], 2.0, -v[0:1]
	v_add_f64 v[16:17], v[48:49], -v[40:41]
	v_fma_f64 v[34:35], v[50:51], 2.0, -v[2:3]
	v_fma_f64 v[20:21], v[68:69], s[4:5], v[56:57]
	v_fma_f64 v[22:23], v[62:63], s[0:1], v[58:59]
	v_add_f64 v[24:25], v[86:87], -v[24:25]
	v_add_f64 v[26:27], v[88:89], -v[26:27]
	v_fma_f64 v[40:41], v[70:71], 2.0, -v[8:9]
	v_fma_f64 v[42:43], v[78:79], 2.0, -v[10:11]
	v_fma_f64 v[28:29], v[28:29], s[4:5], v[90:91]
	v_fma_f64 v[30:31], v[30:31], s[0:1], v[92:93]
	v_fma_f64 v[36:37], v[64:65], 2.0, -v[4:5]
	v_fma_f64 v[38:39], v[52:53], 2.0, -v[6:7]
	;; [unrolled: 1-line block ×12, first 2 shown]
	ds_store_b128 v174, v[0:3] offset:19584
	ds_store_b128 v174, v[8:11] offset:21216
	;; [unrolled: 1-line block ×12, first 2 shown]
	ds_store_b128 v174, v[48:51]
	ds_store_b128 v174, v[56:59] offset:1632
	ds_store_b128 v174, v[52:55] offset:3264
	;; [unrolled: 1-line block ×3, first 2 shown]
	s_waitcnt lgkmcnt(0)
	s_barrier
	buffer_gl0_inv
	s_and_saveexec_b32 s0, vcc_lo
	s_cbranch_execz .LBB0_27
; %bb.26:
	v_mul_lo_u32 v2, s3, v76
	v_mul_lo_u32 v3, s2, v77
	v_mad_u64_u32 v[0:1], null, s2, v76, 0
	v_lshl_add_u32 v34, v74, 4, 0
	v_dual_mov_b32 v75, 0 :: v_dual_add_nc_u32 v12, 0x66, v74
	v_lshlrev_b64 v[8:9], 4, v[72:73]
	v_add_nc_u32_e32 v22, 0x1fe, v74
	s_delay_alu instid0(VALU_DEP_3) | instskip(SKIP_4) | instid1(VALU_DEP_4)
	v_dual_mov_b32 v25, v75 :: v_dual_add_nc_u32 v24, 0x264, v74
	v_add3_u32 v1, v1, v3, v2
	v_mov_b32_e32 v13, v75
	v_lshlrev_b64 v[14:15], 4, v[74:75]
	v_mov_b32_e32 v23, v75
	v_lshlrev_b64 v[10:11], 4, v[0:1]
	ds_load_b128 v[0:3], v34
	ds_load_b128 v[4:7], v34 offset:1632
	v_lshlrev_b64 v[22:23], 4, v[22:23]
	v_add_co_u32 v10, vcc_lo, s6, v10
	v_add_co_ci_u32_e32 v11, vcc_lo, s7, v11, vcc_lo
	s_delay_alu instid0(VALU_DEP_2) | instskip(NEXT) | instid1(VALU_DEP_2)
	v_add_co_u32 v36, vcc_lo, v10, v8
	v_add_co_ci_u32_e32 v37, vcc_lo, v11, v9, vcc_lo
	v_lshlrev_b64 v[8:9], 4, v[12:13]
	v_add_nc_u32_e32 v12, 0xcc, v74
	s_delay_alu instid0(VALU_DEP_4) | instskip(NEXT) | instid1(VALU_DEP_4)
	v_add_co_u32 v10, vcc_lo, v36, v14
	v_add_co_ci_u32_e32 v11, vcc_lo, v37, v15, vcc_lo
	s_delay_alu instid0(VALU_DEP_4)
	v_add_co_u32 v8, vcc_lo, v36, v8
	v_add_co_ci_u32_e32 v9, vcc_lo, v37, v9, vcc_lo
	s_waitcnt lgkmcnt(1)
	global_store_b128 v[10:11], v[0:3], off
	s_waitcnt lgkmcnt(0)
	global_store_b128 v[8:9], v[4:7], off
	v_lshlrev_b64 v[0:1], 4, v[12:13]
	v_dual_mov_b32 v9, v75 :: v_dual_add_nc_u32 v8, 0x132, v74
	v_dual_mov_b32 v11, v75 :: v_dual_add_nc_u32 v10, 0x198, v74
	s_delay_alu instid0(VALU_DEP_3) | instskip(NEXT) | instid1(VALU_DEP_4)
	v_add_co_u32 v16, vcc_lo, v36, v0
	v_add_co_ci_u32_e32 v17, vcc_lo, v37, v1, vcc_lo
	ds_load_b128 v[0:3], v34 offset:3264
	ds_load_b128 v[4:7], v34 offset:4896
	v_lshlrev_b64 v[18:19], 4, v[8:9]
	v_lshlrev_b64 v[20:21], 4, v[10:11]
	ds_load_b128 v[8:11], v34 offset:6528
	ds_load_b128 v[12:15], v34 offset:8160
	v_add_co_u32 v18, vcc_lo, v36, v18
	v_add_co_ci_u32_e32 v19, vcc_lo, v37, v19, vcc_lo
	v_add_co_u32 v20, vcc_lo, v36, v20
	v_add_co_ci_u32_e32 v21, vcc_lo, v37, v21, vcc_lo
	;; [unrolled: 2-line block ×3, first 2 shown]
	s_waitcnt lgkmcnt(3)
	global_store_b128 v[16:17], v[0:3], off
	s_waitcnt lgkmcnt(2)
	global_store_b128 v[18:19], v[4:7], off
	;; [unrolled: 2-line block ×4, first 2 shown]
	v_lshlrev_b64 v[0:1], 4, v[24:25]
	v_dual_mov_b32 v9, v75 :: v_dual_add_nc_u32 v8, 0x2ca, v74
	v_dual_mov_b32 v11, v75 :: v_dual_add_nc_u32 v10, 0x330, v74
	;; [unrolled: 1-line block ×3, first 2 shown]
	s_delay_alu instid0(VALU_DEP_4)
	v_add_co_u32 v16, vcc_lo, v36, v0
	v_add_co_ci_u32_e32 v17, vcc_lo, v37, v1, vcc_lo
	ds_load_b128 v[0:3], v34 offset:9792
	ds_load_b128 v[4:7], v34 offset:11424
	v_lshlrev_b64 v[18:19], 4, v[8:9]
	v_lshlrev_b64 v[20:21], 4, v[10:11]
	ds_load_b128 v[8:11], v34 offset:13056
	ds_load_b128 v[12:15], v34 offset:14688
	v_lshlrev_b64 v[22:23], 4, v[22:23]
	v_add_nc_u32_e32 v24, 0x3fc, v74
	v_add_co_u32 v18, vcc_lo, v36, v18
	v_add_co_ci_u32_e32 v19, vcc_lo, v37, v19, vcc_lo
	v_add_co_u32 v20, vcc_lo, v36, v20
	v_add_co_ci_u32_e32 v21, vcc_lo, v37, v21, vcc_lo
	v_add_co_u32 v22, vcc_lo, v36, v22
	s_waitcnt lgkmcnt(3)
	global_store_b128 v[16:17], v[0:3], off
	s_waitcnt lgkmcnt(2)
	global_store_b128 v[18:19], v[4:7], off
	v_dual_mov_b32 v3, v75 :: v_dual_add_nc_u32 v2, 0x462, v74
	v_add_co_ci_u32_e32 v23, vcc_lo, v37, v23, vcc_lo
	v_lshlrev_b64 v[0:1], 4, v[24:25]
	s_waitcnt lgkmcnt(1)
	global_store_b128 v[20:21], v[8:11], off
	s_waitcnt lgkmcnt(0)
	global_store_b128 v[22:23], v[12:15], off
	v_mov_b32_e32 v11, v75
	v_lshlrev_b64 v[8:9], 4, v[2:3]
	v_dual_mov_b32 v17, v75 :: v_dual_add_nc_u32 v10, 0x4c8, v74
	v_add_co_u32 v24, vcc_lo, v36, v0
	v_add_co_ci_u32_e32 v25, vcc_lo, v37, v1, vcc_lo
	s_delay_alu instid0(VALU_DEP_4)
	v_add_co_u32 v26, vcc_lo, v36, v8
	v_add_co_ci_u32_e32 v27, vcc_lo, v37, v9, vcc_lo
	v_lshlrev_b64 v[8:9], 4, v[10:11]
	v_dual_mov_b32 v19, v75 :: v_dual_add_nc_u32 v16, 0x52e, v74
	v_add_nc_u32_e32 v18, 0x594, v74
	ds_load_b128 v[0:3], v34 offset:16320
	ds_load_b128 v[4:7], v34 offset:17952
	v_add_nc_u32_e32 v74, 0x5fa, v74
	v_add_co_u32 v28, vcc_lo, v36, v8
	v_add_co_ci_u32_e32 v29, vcc_lo, v37, v9, vcc_lo
	ds_load_b128 v[8:11], v34 offset:19584
	ds_load_b128 v[12:15], v34 offset:21216
	v_lshlrev_b64 v[30:31], 4, v[16:17]
	v_lshlrev_b64 v[32:33], 4, v[18:19]
	ds_load_b128 v[16:19], v34 offset:22848
	ds_load_b128 v[20:23], v34 offset:24480
	v_lshlrev_b64 v[34:35], 4, v[74:75]
	v_add_co_u32 v30, vcc_lo, v36, v30
	v_add_co_ci_u32_e32 v31, vcc_lo, v37, v31, vcc_lo
	v_add_co_u32 v32, vcc_lo, v36, v32
	v_add_co_ci_u32_e32 v33, vcc_lo, v37, v33, vcc_lo
	;; [unrolled: 2-line block ×3, first 2 shown]
	s_waitcnt lgkmcnt(5)
	global_store_b128 v[24:25], v[0:3], off
	s_waitcnt lgkmcnt(4)
	global_store_b128 v[26:27], v[4:7], off
	s_waitcnt lgkmcnt(3)
	global_store_b128 v[28:29], v[8:11], off
	s_waitcnt lgkmcnt(2)
	global_store_b128 v[30:31], v[12:15], off
	s_waitcnt lgkmcnt(1)
	global_store_b128 v[32:33], v[16:19], off
	s_waitcnt lgkmcnt(0)
	global_store_b128 v[34:35], v[20:23], off
.LBB0_27:
	s_nop 0
	s_sendmsg sendmsg(MSG_DEALLOC_VGPRS)
	s_endpgm
	.section	.rodata,"a",@progbits
	.p2align	6, 0x0
	.amdhsa_kernel fft_rtc_back_len1632_factors_17_2_2_3_8_wgs_102_tpt_102_halfLds_dp_op_CI_CI_unitstride_sbrr_C2R_dirReg
		.amdhsa_group_segment_fixed_size 0
		.amdhsa_private_segment_fixed_size 0
		.amdhsa_kernarg_size 104
		.amdhsa_user_sgpr_count 15
		.amdhsa_user_sgpr_dispatch_ptr 0
		.amdhsa_user_sgpr_queue_ptr 0
		.amdhsa_user_sgpr_kernarg_segment_ptr 1
		.amdhsa_user_sgpr_dispatch_id 0
		.amdhsa_user_sgpr_private_segment_size 0
		.amdhsa_wavefront_size32 1
		.amdhsa_uses_dynamic_stack 0
		.amdhsa_enable_private_segment 0
		.amdhsa_system_sgpr_workgroup_id_x 1
		.amdhsa_system_sgpr_workgroup_id_y 0
		.amdhsa_system_sgpr_workgroup_id_z 0
		.amdhsa_system_sgpr_workgroup_info 0
		.amdhsa_system_vgpr_workitem_id 0
		.amdhsa_next_free_vgpr 251
		.amdhsa_next_free_sgpr 54
		.amdhsa_reserve_vcc 1
		.amdhsa_float_round_mode_32 0
		.amdhsa_float_round_mode_16_64 0
		.amdhsa_float_denorm_mode_32 3
		.amdhsa_float_denorm_mode_16_64 3
		.amdhsa_dx10_clamp 1
		.amdhsa_ieee_mode 1
		.amdhsa_fp16_overflow 0
		.amdhsa_workgroup_processor_mode 1
		.amdhsa_memory_ordered 1
		.amdhsa_forward_progress 0
		.amdhsa_shared_vgpr_count 0
		.amdhsa_exception_fp_ieee_invalid_op 0
		.amdhsa_exception_fp_denorm_src 0
		.amdhsa_exception_fp_ieee_div_zero 0
		.amdhsa_exception_fp_ieee_overflow 0
		.amdhsa_exception_fp_ieee_underflow 0
		.amdhsa_exception_fp_ieee_inexact 0
		.amdhsa_exception_int_div_zero 0
	.end_amdhsa_kernel
	.text
.Lfunc_end0:
	.size	fft_rtc_back_len1632_factors_17_2_2_3_8_wgs_102_tpt_102_halfLds_dp_op_CI_CI_unitstride_sbrr_C2R_dirReg, .Lfunc_end0-fft_rtc_back_len1632_factors_17_2_2_3_8_wgs_102_tpt_102_halfLds_dp_op_CI_CI_unitstride_sbrr_C2R_dirReg
                                        ; -- End function
	.section	.AMDGPU.csdata,"",@progbits
; Kernel info:
; codeLenInByte = 18064
; NumSgprs: 56
; NumVgprs: 251
; ScratchSize: 0
; MemoryBound: 0
; FloatMode: 240
; IeeeMode: 1
; LDSByteSize: 0 bytes/workgroup (compile time only)
; SGPRBlocks: 6
; VGPRBlocks: 31
; NumSGPRsForWavesPerEU: 56
; NumVGPRsForWavesPerEU: 251
; Occupancy: 5
; WaveLimiterHint : 1
; COMPUTE_PGM_RSRC2:SCRATCH_EN: 0
; COMPUTE_PGM_RSRC2:USER_SGPR: 15
; COMPUTE_PGM_RSRC2:TRAP_HANDLER: 0
; COMPUTE_PGM_RSRC2:TGID_X_EN: 1
; COMPUTE_PGM_RSRC2:TGID_Y_EN: 0
; COMPUTE_PGM_RSRC2:TGID_Z_EN: 0
; COMPUTE_PGM_RSRC2:TIDIG_COMP_CNT: 0
	.text
	.p2alignl 7, 3214868480
	.fill 96, 4, 3214868480
	.type	__hip_cuid_71dc28176d2559b7,@object ; @__hip_cuid_71dc28176d2559b7
	.section	.bss,"aw",@nobits
	.globl	__hip_cuid_71dc28176d2559b7
__hip_cuid_71dc28176d2559b7:
	.byte	0                               ; 0x0
	.size	__hip_cuid_71dc28176d2559b7, 1

	.ident	"AMD clang version 19.0.0git (https://github.com/RadeonOpenCompute/llvm-project roc-6.4.0 25133 c7fe45cf4b819c5991fe208aaa96edf142730f1d)"
	.section	".note.GNU-stack","",@progbits
	.addrsig
	.addrsig_sym __hip_cuid_71dc28176d2559b7
	.amdgpu_metadata
---
amdhsa.kernels:
  - .args:
      - .actual_access:  read_only
        .address_space:  global
        .offset:         0
        .size:           8
        .value_kind:     global_buffer
      - .offset:         8
        .size:           8
        .value_kind:     by_value
      - .actual_access:  read_only
        .address_space:  global
        .offset:         16
        .size:           8
        .value_kind:     global_buffer
      - .actual_access:  read_only
        .address_space:  global
        .offset:         24
        .size:           8
        .value_kind:     global_buffer
      - .actual_access:  read_only
        .address_space:  global
        .offset:         32
        .size:           8
        .value_kind:     global_buffer
      - .offset:         40
        .size:           8
        .value_kind:     by_value
      - .actual_access:  read_only
        .address_space:  global
        .offset:         48
        .size:           8
        .value_kind:     global_buffer
      - .actual_access:  read_only
        .address_space:  global
        .offset:         56
        .size:           8
        .value_kind:     global_buffer
      - .offset:         64
        .size:           4
        .value_kind:     by_value
      - .actual_access:  read_only
        .address_space:  global
        .offset:         72
        .size:           8
        .value_kind:     global_buffer
      - .actual_access:  read_only
        .address_space:  global
        .offset:         80
        .size:           8
        .value_kind:     global_buffer
      - .actual_access:  read_only
        .address_space:  global
        .offset:         88
        .size:           8
        .value_kind:     global_buffer
      - .actual_access:  write_only
        .address_space:  global
        .offset:         96
        .size:           8
        .value_kind:     global_buffer
    .group_segment_fixed_size: 0
    .kernarg_segment_align: 8
    .kernarg_segment_size: 104
    .language:       OpenCL C
    .language_version:
      - 2
      - 0
    .max_flat_workgroup_size: 102
    .name:           fft_rtc_back_len1632_factors_17_2_2_3_8_wgs_102_tpt_102_halfLds_dp_op_CI_CI_unitstride_sbrr_C2R_dirReg
    .private_segment_fixed_size: 0
    .sgpr_count:     56
    .sgpr_spill_count: 0
    .symbol:         fft_rtc_back_len1632_factors_17_2_2_3_8_wgs_102_tpt_102_halfLds_dp_op_CI_CI_unitstride_sbrr_C2R_dirReg.kd
    .uniform_work_group_size: 1
    .uses_dynamic_stack: false
    .vgpr_count:     251
    .vgpr_spill_count: 0
    .wavefront_size: 32
    .workgroup_processor_mode: 1
amdhsa.target:   amdgcn-amd-amdhsa--gfx1100
amdhsa.version:
  - 1
  - 2
...

	.end_amdgpu_metadata
